;; amdgpu-corpus repo=ROCm/rocFFT kind=compiled arch=gfx906 opt=O3
	.text
	.amdgcn_target "amdgcn-amd-amdhsa--gfx906"
	.amdhsa_code_object_version 6
	.protected	fft_rtc_fwd_len1248_factors_2_2_13_2_3_2_2_wgs_52_tpt_52_halfLds_sp_op_CI_CI_unitstride_sbrr_R2C_dirReg ; -- Begin function fft_rtc_fwd_len1248_factors_2_2_13_2_3_2_2_wgs_52_tpt_52_halfLds_sp_op_CI_CI_unitstride_sbrr_R2C_dirReg
	.globl	fft_rtc_fwd_len1248_factors_2_2_13_2_3_2_2_wgs_52_tpt_52_halfLds_sp_op_CI_CI_unitstride_sbrr_R2C_dirReg
	.p2align	8
	.type	fft_rtc_fwd_len1248_factors_2_2_13_2_3_2_2_wgs_52_tpt_52_halfLds_sp_op_CI_CI_unitstride_sbrr_R2C_dirReg,@function
fft_rtc_fwd_len1248_factors_2_2_13_2_3_2_2_wgs_52_tpt_52_halfLds_sp_op_CI_CI_unitstride_sbrr_R2C_dirReg: ; @fft_rtc_fwd_len1248_factors_2_2_13_2_3_2_2_wgs_52_tpt_52_halfLds_sp_op_CI_CI_unitstride_sbrr_R2C_dirReg
; %bb.0:
	s_load_dwordx4 s[8:11], s[4:5], 0x58
	s_load_dwordx4 s[12:15], s[4:5], 0x0
	;; [unrolled: 1-line block ×3, first 2 shown]
	v_mul_u32_u24_e32 v1, 0x4ed, v0
	v_add_u32_sdwa v5, s6, v1 dst_sel:DWORD dst_unused:UNUSED_PAD src0_sel:DWORD src1_sel:WORD_1
	v_mov_b32_e32 v3, 0
	s_waitcnt lgkmcnt(0)
	v_cmp_lt_u64_e64 s[0:1], s[14:15], 2
	v_mov_b32_e32 v1, 0
	v_mov_b32_e32 v6, v3
	s_and_b64 vcc, exec, s[0:1]
	v_mov_b32_e32 v2, 0
	s_cbranch_vccnz .LBB0_8
; %bb.1:
	s_load_dwordx2 s[0:1], s[4:5], 0x10
	s_add_u32 s2, s18, 8
	s_addc_u32 s3, s19, 0
	s_add_u32 s6, s16, 8
	v_mov_b32_e32 v1, 0
	s_addc_u32 s7, s17, 0
	v_mov_b32_e32 v2, 0
	s_waitcnt lgkmcnt(0)
	s_add_u32 s20, s0, 8
	v_mov_b32_e32 v73, v2
	s_addc_u32 s21, s1, 0
	s_mov_b64 s[22:23], 1
	v_mov_b32_e32 v72, v1
.LBB0_2:                                ; =>This Inner Loop Header: Depth=1
	s_load_dwordx2 s[24:25], s[20:21], 0x0
                                        ; implicit-def: $vgpr76_vgpr77
	s_waitcnt lgkmcnt(0)
	v_or_b32_e32 v4, s25, v6
	v_cmp_ne_u64_e32 vcc, 0, v[3:4]
	s_and_saveexec_b64 s[0:1], vcc
	s_xor_b64 s[26:27], exec, s[0:1]
	s_cbranch_execz .LBB0_4
; %bb.3:                                ;   in Loop: Header=BB0_2 Depth=1
	v_cvt_f32_u32_e32 v4, s24
	v_cvt_f32_u32_e32 v7, s25
	s_sub_u32 s0, 0, s24
	s_subb_u32 s1, 0, s25
	v_mac_f32_e32 v4, 0x4f800000, v7
	v_rcp_f32_e32 v4, v4
	v_mul_f32_e32 v4, 0x5f7ffffc, v4
	v_mul_f32_e32 v7, 0x2f800000, v4
	v_trunc_f32_e32 v7, v7
	v_mac_f32_e32 v4, 0xcf800000, v7
	v_cvt_u32_f32_e32 v7, v7
	v_cvt_u32_f32_e32 v4, v4
	v_mul_lo_u32 v8, s0, v7
	v_mul_hi_u32 v9, s0, v4
	v_mul_lo_u32 v11, s1, v4
	v_mul_lo_u32 v10, s0, v4
	v_add_u32_e32 v8, v9, v8
	v_add_u32_e32 v8, v8, v11
	v_mul_hi_u32 v9, v4, v10
	v_mul_lo_u32 v11, v4, v8
	v_mul_hi_u32 v13, v4, v8
	v_mul_hi_u32 v12, v7, v10
	v_mul_lo_u32 v10, v7, v10
	v_mul_hi_u32 v14, v7, v8
	v_add_co_u32_e32 v9, vcc, v9, v11
	v_addc_co_u32_e32 v11, vcc, 0, v13, vcc
	v_mul_lo_u32 v8, v7, v8
	v_add_co_u32_e32 v9, vcc, v9, v10
	v_addc_co_u32_e32 v9, vcc, v11, v12, vcc
	v_addc_co_u32_e32 v10, vcc, 0, v14, vcc
	v_add_co_u32_e32 v8, vcc, v9, v8
	v_addc_co_u32_e32 v9, vcc, 0, v10, vcc
	v_add_co_u32_e32 v4, vcc, v4, v8
	v_addc_co_u32_e32 v7, vcc, v7, v9, vcc
	v_mul_lo_u32 v8, s0, v7
	v_mul_hi_u32 v9, s0, v4
	v_mul_lo_u32 v10, s1, v4
	v_mul_lo_u32 v11, s0, v4
	v_add_u32_e32 v8, v9, v8
	v_add_u32_e32 v8, v8, v10
	v_mul_lo_u32 v12, v4, v8
	v_mul_hi_u32 v13, v4, v11
	v_mul_hi_u32 v14, v4, v8
	v_mul_hi_u32 v10, v7, v11
	v_mul_lo_u32 v11, v7, v11
	v_mul_hi_u32 v9, v7, v8
	v_add_co_u32_e32 v12, vcc, v13, v12
	v_addc_co_u32_e32 v13, vcc, 0, v14, vcc
	v_mul_lo_u32 v8, v7, v8
	v_add_co_u32_e32 v11, vcc, v12, v11
	v_addc_co_u32_e32 v10, vcc, v13, v10, vcc
	v_addc_co_u32_e32 v9, vcc, 0, v9, vcc
	v_add_co_u32_e32 v8, vcc, v10, v8
	v_addc_co_u32_e32 v9, vcc, 0, v9, vcc
	v_add_co_u32_e32 v4, vcc, v4, v8
	v_addc_co_u32_e32 v9, vcc, v7, v9, vcc
	v_mad_u64_u32 v[7:8], s[0:1], v5, v9, 0
	v_mul_hi_u32 v10, v5, v4
	v_add_co_u32_e32 v11, vcc, v10, v7
	v_addc_co_u32_e32 v12, vcc, 0, v8, vcc
	v_mad_u64_u32 v[7:8], s[0:1], v6, v4, 0
	v_mad_u64_u32 v[9:10], s[0:1], v6, v9, 0
	v_add_co_u32_e32 v4, vcc, v11, v7
	v_addc_co_u32_e32 v4, vcc, v12, v8, vcc
	v_addc_co_u32_e32 v7, vcc, 0, v10, vcc
	v_add_co_u32_e32 v4, vcc, v4, v9
	v_addc_co_u32_e32 v9, vcc, 0, v7, vcc
	v_mul_lo_u32 v10, s25, v4
	v_mul_lo_u32 v11, s24, v9
	v_mad_u64_u32 v[7:8], s[0:1], s24, v4, 0
	v_add3_u32 v8, v8, v11, v10
	v_sub_u32_e32 v10, v6, v8
	v_mov_b32_e32 v11, s25
	v_sub_co_u32_e32 v7, vcc, v5, v7
	v_subb_co_u32_e64 v10, s[0:1], v10, v11, vcc
	v_subrev_co_u32_e64 v11, s[0:1], s24, v7
	v_subbrev_co_u32_e64 v10, s[0:1], 0, v10, s[0:1]
	v_cmp_le_u32_e64 s[0:1], s25, v10
	v_cndmask_b32_e64 v12, 0, -1, s[0:1]
	v_cmp_le_u32_e64 s[0:1], s24, v11
	v_cndmask_b32_e64 v11, 0, -1, s[0:1]
	v_cmp_eq_u32_e64 s[0:1], s25, v10
	v_cndmask_b32_e64 v10, v12, v11, s[0:1]
	v_add_co_u32_e64 v11, s[0:1], 2, v4
	v_addc_co_u32_e64 v12, s[0:1], 0, v9, s[0:1]
	v_add_co_u32_e64 v13, s[0:1], 1, v4
	v_addc_co_u32_e64 v14, s[0:1], 0, v9, s[0:1]
	v_subb_co_u32_e32 v8, vcc, v6, v8, vcc
	v_cmp_ne_u32_e64 s[0:1], 0, v10
	v_cmp_le_u32_e32 vcc, s25, v8
	v_cndmask_b32_e64 v10, v14, v12, s[0:1]
	v_cndmask_b32_e64 v12, 0, -1, vcc
	v_cmp_le_u32_e32 vcc, s24, v7
	v_cndmask_b32_e64 v7, 0, -1, vcc
	v_cmp_eq_u32_e32 vcc, s25, v8
	v_cndmask_b32_e32 v7, v12, v7, vcc
	v_cmp_ne_u32_e32 vcc, 0, v7
	v_cndmask_b32_e64 v7, v13, v11, s[0:1]
	v_cndmask_b32_e32 v77, v9, v10, vcc
	v_cndmask_b32_e32 v76, v4, v7, vcc
.LBB0_4:                                ;   in Loop: Header=BB0_2 Depth=1
	s_andn2_saveexec_b64 s[0:1], s[26:27]
	s_cbranch_execz .LBB0_6
; %bb.5:                                ;   in Loop: Header=BB0_2 Depth=1
	v_cvt_f32_u32_e32 v4, s24
	s_sub_i32 s26, 0, s24
	v_mov_b32_e32 v77, v3
	v_rcp_iflag_f32_e32 v4, v4
	v_mul_f32_e32 v4, 0x4f7ffffe, v4
	v_cvt_u32_f32_e32 v4, v4
	v_mul_lo_u32 v7, s26, v4
	v_mul_hi_u32 v7, v4, v7
	v_add_u32_e32 v4, v4, v7
	v_mul_hi_u32 v4, v5, v4
	v_mul_lo_u32 v7, v4, s24
	v_add_u32_e32 v8, 1, v4
	v_sub_u32_e32 v7, v5, v7
	v_subrev_u32_e32 v9, s24, v7
	v_cmp_le_u32_e32 vcc, s24, v7
	v_cndmask_b32_e32 v7, v7, v9, vcc
	v_cndmask_b32_e32 v4, v4, v8, vcc
	v_add_u32_e32 v8, 1, v4
	v_cmp_le_u32_e32 vcc, s24, v7
	v_cndmask_b32_e32 v76, v4, v8, vcc
.LBB0_6:                                ;   in Loop: Header=BB0_2 Depth=1
	s_or_b64 exec, exec, s[0:1]
	v_mul_lo_u32 v4, v77, s24
	v_mul_lo_u32 v9, v76, s25
	v_mad_u64_u32 v[7:8], s[0:1], v76, s24, 0
	s_load_dwordx2 s[0:1], s[6:7], 0x0
	s_load_dwordx2 s[24:25], s[2:3], 0x0
	v_add3_u32 v4, v8, v9, v4
	v_sub_co_u32_e32 v5, vcc, v5, v7
	v_subb_co_u32_e32 v4, vcc, v6, v4, vcc
	s_waitcnt lgkmcnt(0)
	v_mul_lo_u32 v6, s0, v4
	v_mul_lo_u32 v7, s1, v5
	v_mad_u64_u32 v[1:2], s[0:1], s0, v5, v[1:2]
	v_mul_lo_u32 v4, s24, v4
	v_mul_lo_u32 v8, s25, v5
	v_mad_u64_u32 v[72:73], s[0:1], s24, v5, v[72:73]
	s_add_u32 s22, s22, 1
	s_addc_u32 s23, s23, 0
	s_add_u32 s2, s2, 8
	v_add3_u32 v73, v8, v73, v4
	s_addc_u32 s3, s3, 0
	v_mov_b32_e32 v4, s14
	s_add_u32 s6, s6, 8
	v_mov_b32_e32 v5, s15
	s_addc_u32 s7, s7, 0
	v_cmp_ge_u64_e32 vcc, s[22:23], v[4:5]
	s_add_u32 s20, s20, 8
	v_add3_u32 v2, v7, v2, v6
	s_addc_u32 s21, s21, 0
	s_cbranch_vccnz .LBB0_9
; %bb.7:                                ;   in Loop: Header=BB0_2 Depth=1
	v_mov_b32_e32 v5, v76
	v_mov_b32_e32 v6, v77
	s_branch .LBB0_2
.LBB0_8:
	v_mov_b32_e32 v73, v2
	v_mov_b32_e32 v77, v6
	;; [unrolled: 1-line block ×4, first 2 shown]
.LBB0_9:
	s_load_dwordx2 s[4:5], s[4:5], 0x28
	s_lshl_b64 s[6:7], s[14:15], 3
	s_add_u32 s2, s18, s6
	s_addc_u32 s3, s19, s7
                                        ; implicit-def: $vgpr74
                                        ; implicit-def: $vgpr90
                                        ; implicit-def: $vgpr89
                                        ; implicit-def: $vgpr88
                                        ; implicit-def: $vgpr87
                                        ; implicit-def: $vgpr86
                                        ; implicit-def: $vgpr85
                                        ; implicit-def: $vgpr84
                                        ; implicit-def: $vgpr83
                                        ; implicit-def: $vgpr78
                                        ; implicit-def: $vgpr80
                                        ; implicit-def: $vgpr82
	s_waitcnt lgkmcnt(0)
	v_cmp_gt_u64_e64 s[0:1], s[4:5], v[76:77]
	v_cmp_le_u64_e32 vcc, s[4:5], v[76:77]
	s_and_saveexec_b64 s[4:5], vcc
	s_xor_b64 s[4:5], exec, s[4:5]
	s_cbranch_execz .LBB0_11
; %bb.10:
	s_mov_b32 s14, 0x4ec4ec5
	v_mul_hi_u32 v1, v0, s14
	v_mul_u32_u24_e32 v1, 52, v1
	v_sub_u32_e32 v74, v0, v1
	v_add_u32_e32 v90, 52, v74
	v_add_u32_e32 v89, 0x68, v74
	;; [unrolled: 1-line block ×11, first 2 shown]
                                        ; implicit-def: $vgpr0
                                        ; implicit-def: $vgpr1_vgpr2
.LBB0_11:
	s_andn2_saveexec_b64 s[4:5], s[4:5]
	s_cbranch_execz .LBB0_13
; %bb.12:
	s_add_u32 s6, s16, s6
	s_addc_u32 s7, s17, s7
	s_load_dwordx2 s[6:7], s[6:7], 0x0
	s_mov_b32 s14, 0x4ec4ec5
	v_mul_hi_u32 v5, v0, s14
	s_waitcnt lgkmcnt(0)
	v_mul_lo_u32 v6, s7, v76
	v_mul_lo_u32 v7, s6, v77
	v_mad_u64_u32 v[3:4], s[6:7], s6, v76, 0
	v_mul_u32_u24_e32 v5, 52, v5
	v_sub_u32_e32 v74, v0, v5
	v_add3_u32 v4, v4, v7, v6
	v_lshlrev_b64 v[3:4], 3, v[3:4]
	v_mov_b32_e32 v0, s9
	v_add_co_u32_e32 v3, vcc, s8, v3
	v_addc_co_u32_e32 v4, vcc, v0, v4, vcc
	v_lshlrev_b64 v[0:1], 3, v[1:2]
	v_lshlrev_b32_e32 v54, 3, v74
	v_add_co_u32_e32 v36, vcc, v3, v0
	v_addc_co_u32_e32 v37, vcc, v4, v1, vcc
	v_add_co_u32_e32 v0, vcc, v36, v54
	v_addc_co_u32_e32 v1, vcc, 0, v37, vcc
	s_movk_i32 s6, 0x1000
	v_add_co_u32_e32 v10, vcc, s6, v0
	v_addc_co_u32_e32 v11, vcc, 0, v1, vcc
	v_or_b32_e32 v38, 0x1a00, v54
	v_add_co_u32_e32 v36, vcc, v36, v38
	v_addc_co_u32_e32 v37, vcc, 0, v37, vcc
	global_load_dwordx2 v[2:3], v[0:1], off offset:1664
	global_load_dwordx2 v[4:5], v[0:1], off offset:2080
	;; [unrolled: 1-line block ×12, first 2 shown]
	global_load_dwordx2 v[28:29], v[0:1], off
	global_load_dwordx2 v[30:31], v[0:1], off offset:416
	global_load_dwordx2 v[32:33], v[0:1], off offset:832
	;; [unrolled: 1-line block ×3, first 2 shown]
	v_add_co_u32_e32 v0, vcc, 0x2000, v0
	v_addc_co_u32_e32 v1, vcc, 0, v1, vcc
	global_load_dwordx2 v[38:39], v[10:11], off offset:2976
	global_load_dwordx2 v[40:41], v[10:11], off offset:3392
	global_load_dwordx2 v[42:43], v[36:37], off
	global_load_dwordx2 v[44:45], v[10:11], off offset:3808
	global_load_dwordx2 v[46:47], v[0:1], off offset:128
	;; [unrolled: 1-line block ×5, first 2 shown]
	v_add_u32_e32 v0, 0, v54
	v_add_u32_e32 v90, 52, v74
	;; [unrolled: 1-line block ×18, first 2 shown]
	s_waitcnt vmcnt(22)
	ds_write2_b64 v1, v[2:3], v[4:5] offset0:80 offset1:132
	s_waitcnt vmcnt(20)
	ds_write2_b64 v10, v[6:7], v[8:9] offset0:56 offset1:108
	;; [unrolled: 2-line block ×3, first 2 shown]
	s_waitcnt vmcnt(10)
	ds_write2_b64 v0, v[28:29], v[30:31] offset1:52
	s_waitcnt vmcnt(8)
	ds_write2_b64 v0, v[32:33], v[34:35] offset0:104 offset1:156
	ds_write2_b64 v11, v[16:17], v[18:19] offset0:8 offset1:60
	;; [unrolled: 1-line block ×4, first 2 shown]
	s_waitcnt vmcnt(5)
	ds_write2_b64 v37, v[42:43], v[38:39] offset0:64 offset1:116
	s_waitcnt vmcnt(4)
	ds_write2_b64 v37, v[40:41], v[44:45] offset0:168 offset1:220
	;; [unrolled: 2-line block ×4, first 2 shown]
.LBB0_13:
	s_or_b64 exec, exec, s[4:5]
	v_lshlrev_b32_e32 v99, 3, v74
	v_add_u32_e32 v97, 0, v99
	s_load_dwordx2 s[2:3], s[2:3], 0x0
	s_waitcnt lgkmcnt(0)
	; wave barrier
	s_waitcnt lgkmcnt(0)
	v_add_u32_e32 v20, 0x1000, v97
	ds_read2_b64 v[0:3], v97 offset1:52
	ds_read2_b64 v[4:7], v20 offset0:112 offset1:164
	v_add_u32_e32 v54, v97, v99
	v_add_u32_e32 v24, 0x1400, v97
	;; [unrolled: 1-line block ×4, first 2 shown]
	s_waitcnt lgkmcnt(0)
	v_sub_f32_e32 v4, v0, v4
	v_sub_f32_e32 v5, v1, v5
	v_fma_f32 v0, v0, 2.0, -v4
	v_fma_f32 v1, v1, 2.0, -v5
	v_add_u32_e32 v25, 0x800, v97
	v_add_u32_e32 v21, 0x2000, v97
	ds_read2_b64 v[8:11], v97 offset0:104 offset1:156
	ds_read2_b64 v[12:15], v24 offset0:88 offset1:140
	ds_read2_b64 v[16:19], v23 offset0:80 offset1:132
	ds_read2_b64 v[26:29], v22 offset0:64 offset1:116
	ds_read2_b64 v[30:33], v25 offset0:56 offset1:108
	ds_read2_b64 v[34:37], v22 offset0:168 offset1:220
	ds_read2_b64 v[38:41], v25 offset0:160 offset1:212
	ds_read2_b64 v[42:45], v21 offset0:16 offset1:68
	ds_read2_b64 v[46:49], v20 offset0:8 offset1:60
	ds_read2_b64 v[50:53], v21 offset0:120 offset1:172
	s_waitcnt lgkmcnt(0)
	; wave barrier
	s_waitcnt lgkmcnt(0)
	ds_write2_b64 v54, v[0:1], v[4:5] offset1:1
	v_sub_f32_e32 v0, v2, v6
	v_sub_f32_e32 v1, v3, v7
	v_fma_f32 v2, v2, 2.0, -v0
	v_fma_f32 v3, v3, 2.0, -v1
	v_lshl_add_u32 v4, v90, 4, 0
	ds_write2_b64 v4, v[2:3], v[0:1] offset1:1
	v_sub_f32_e32 v0, v8, v12
	v_sub_f32_e32 v1, v9, v13
	v_fma_f32 v2, v8, 2.0, -v0
	v_fma_f32 v3, v9, 2.0, -v1
	v_lshl_add_u32 v4, v89, 4, 0
	;; [unrolled: 6-line block ×5, first 2 shown]
	ds_write2_b64 v4, v[2:3], v[0:1] offset1:1
	v_sub_f32_e32 v0, v30, v34
	v_sub_f32_e32 v1, v31, v35
	;; [unrolled: 1-line block ×4, first 2 shown]
	v_fma_f32 v4, v30, 2.0, -v0
	v_fma_f32 v5, v31, 2.0, -v1
	;; [unrolled: 1-line block ×3, first 2 shown]
	v_sub_f32_e32 v8, v38, v42
	v_sub_f32_e32 v9, v39, v43
	;; [unrolled: 1-line block ×8, first 2 shown]
	v_lshl_add_u32 v79, v85, 4, 0
	v_and_b32_e32 v32, 1, v74
	v_fma_f32 v7, v33, 2.0, -v3
	v_fma_f32 v12, v38, 2.0, -v8
	;; [unrolled: 1-line block ×9, first 2 shown]
	ds_write2_b64 v79, v[4:5], v[0:1] offset1:1
	v_lshl_add_u32 v81, v84, 4, 0
	v_lshl_add_u32 v104, v83, 4, 0
	;; [unrolled: 1-line block ×5, first 2 shown]
	v_lshlrev_b32_e32 v0, 3, v32
	ds_write2_b64 v81, v[6:7], v[2:3] offset1:1
	ds_write2_b64 v104, v[12:13], v[8:9] offset1:1
	;; [unrolled: 1-line block ×5, first 2 shown]
	s_waitcnt lgkmcnt(0)
	; wave barrier
	s_waitcnt lgkmcnt(0)
	global_load_dwordx2 v[8:9], v0, s[12:13]
	ds_read2_b64 v[0:3], v20 offset0:112 offset1:164
	v_lshl_add_u32 v103, v90, 3, 0
	v_lshl_add_u32 v102, v89, 3, 0
	;; [unrolled: 1-line block ×3, first 2 shown]
	s_movk_i32 s4, 0x7c
	v_lshlrev_b32_e32 v92, 1, v74
	v_lshlrev_b32_e32 v108, 3, v85
	;; [unrolled: 1-line block ×7, first 2 shown]
	v_and_or_b32 v55, v92, s4, v32
	v_sub_u32_e32 v14, v79, v108
	v_sub_u32_e32 v12, v104, v110
	;; [unrolled: 1-line block ×5, first 2 shown]
	v_lshl_add_u32 v55, v55, 3, 0
	s_movk_i32 s4, 0xfc
	v_lshlrev_b32_e32 v91, 1, v90
	v_lshl_add_u32 v100, v87, 3, 0
	v_lshl_add_u32 v98, v86, 3, 0
	s_movk_i32 s5, 0x2fc
	v_cmp_gt_u32_e32 vcc, 44, v74
	s_waitcnt vmcnt(0) lgkmcnt(0)
	v_mul_f32_e32 v4, v9, v1
	v_fma_f32 v10, v8, v0, -v4
	ds_read2_b64 v[4:7], v24 offset0:88 offset1:140
	v_mul_f32_e32 v11, v9, v0
	v_mul_f32_e32 v0, v9, v3
	v_fma_f32 v33, v8, v2, -v0
	v_mul_f32_e32 v34, v9, v2
	s_waitcnt lgkmcnt(0)
	v_mul_f32_e32 v0, v9, v5
	v_fmac_f32_e32 v11, v8, v1
	v_fmac_f32_e32 v34, v8, v3
	v_fma_f32 v35, v8, v4, -v0
	ds_read2_b64 v[0:3], v22 offset0:64 offset1:116
	v_mul_f32_e32 v36, v9, v4
	v_mul_f32_e32 v4, v9, v7
	v_fma_f32 v37, v8, v6, -v4
	v_mul_f32_e32 v38, v9, v6
	s_waitcnt lgkmcnt(0)
	v_mul_f32_e32 v4, v1, v9
	v_fmac_f32_e32 v36, v8, v5
	v_fmac_f32_e32 v38, v8, v7
	;; [unrolled: 10-line block ×4, first 2 shown]
	v_fma_f32 v47, v0, v8, -v4
	ds_read2_b64 v[4:7], v21 offset0:120 offset1:172
	v_mul_f32_e32 v48, v0, v9
	v_mul_f32_e32 v0, v3, v9
	v_fma_f32 v49, v2, v8, -v0
	v_fmac_f32_e32 v48, v1, v8
	s_waitcnt lgkmcnt(0)
	v_mul_f32_e32 v0, v5, v9
	v_fma_f32 v51, v4, v8, -v0
	v_mul_f32_e32 v0, v7, v9
	v_fma_f32 v53, v6, v8, -v0
	ds_read_b64 v[0:1], v97
	v_mul_f32_e32 v50, v2, v9
	v_mul_f32_e32 v52, v4, v9
	;; [unrolled: 1-line block ×3, first 2 shown]
	v_fmac_f32_e32 v50, v3, v8
	v_fmac_f32_e32 v52, v5, v8
	;; [unrolled: 1-line block ×3, first 2 shown]
	ds_read_b64 v[2:3], v103
	ds_read_b64 v[4:5], v102
	;; [unrolled: 1-line block ×3, first 2 shown]
	s_waitcnt lgkmcnt(3)
	v_sub_f32_e32 v8, v0, v10
	v_sub_f32_e32 v9, v1, v11
	v_fma_f32 v0, v0, 2.0, -v8
	v_fma_f32 v1, v1, 2.0, -v9
	v_sub_u32_e32 v10, v81, v109
	ds_read_b64 v[10:11], v10
	ds_read_b64 v[16:17], v12
	;; [unrolled: 1-line block ×8, first 2 shown]
	s_waitcnt lgkmcnt(0)
	; wave barrier
	s_waitcnt lgkmcnt(0)
	ds_write2_b64 v55, v[0:1], v[8:9] offset1:2
	v_sub_f32_e32 v0, v2, v33
	v_sub_f32_e32 v1, v3, v34
	v_and_or_b32 v8, v91, s4, v32
	v_fma_f32 v2, v2, 2.0, -v0
	v_fma_f32 v3, v3, 2.0, -v1
	v_lshl_add_u32 v8, v8, 3, 0
	ds_write2_b64 v8, v[2:3], v[0:1] offset1:2
	v_sub_f32_e32 v0, v4, v35
	v_fma_f32 v2, v4, 2.0, -v0
	s_movk_i32 s4, 0x1fc
	v_lshlrev_b32_e32 v4, 1, v89
	v_sub_f32_e32 v1, v5, v36
	v_and_or_b32 v4, v4, s4, v32
	v_fma_f32 v3, v5, 2.0, -v1
	v_lshl_add_u32 v4, v4, 3, 0
	ds_write2_b64 v4, v[2:3], v[0:1] offset1:2
	v_lshlrev_b32_e32 v4, 1, v88
	v_sub_f32_e32 v0, v6, v37
	v_sub_f32_e32 v1, v7, v38
	v_and_or_b32 v4, v4, s4, v32
	v_fma_f32 v2, v6, 2.0, -v0
	v_fma_f32 v3, v7, 2.0, -v1
	v_lshl_add_u32 v4, v4, 3, 0
	ds_write2_b64 v4, v[2:3], v[0:1] offset1:2
	s_movk_i32 s4, 0x3fc
	v_lshlrev_b32_e32 v4, 1, v87
	v_sub_f32_e32 v0, v12, v39
	v_sub_f32_e32 v1, v13, v40
	v_and_or_b32 v4, v4, s4, v32
	v_fma_f32 v2, v12, 2.0, -v0
	v_fma_f32 v3, v13, 2.0, -v1
	v_lshl_add_u32 v4, v4, 3, 0
	ds_write2_b64 v4, v[2:3], v[0:1] offset1:2
	v_lshlrev_b32_e32 v4, 1, v86
	v_sub_f32_e32 v0, v30, v41
	v_sub_f32_e32 v1, v31, v42
	v_and_or_b32 v4, v4, s5, v32
	v_fma_f32 v2, v30, 2.0, -v0
	v_fma_f32 v3, v31, 2.0, -v1
	v_lshl_add_u32 v4, v4, 3, 0
	v_sub_f32_e32 v6, v26, v51
	ds_write2_b64 v4, v[2:3], v[0:1] offset1:2
	v_sub_f32_e32 v93, v14, v43
	v_sub_f32_e32 v94, v15, v44
	v_lshlrev_b32_e32 v2, 1, v85
	v_fma_f32 v4, v26, 2.0, -v6
	v_lshlrev_b32_e32 v26, 1, v84
	v_fma_f32 v0, v14, 2.0, -v93
	v_fma_f32 v1, v15, 2.0, -v94
	v_and_or_b32 v2, v2, s5, v32
	v_sub_f32_e32 v14, v10, v45
	v_sub_f32_e32 v15, v11, v46
	v_and_or_b32 v26, v26, s4, v32
	v_lshl_add_u32 v2, v2, 3, 0
	v_fma_f32 v12, v10, 2.0, -v14
	v_fma_f32 v13, v11, 2.0, -v15
	v_lshl_add_u32 v26, v26, 3, 0
	ds_write2_b64 v2, v[0:1], v[93:94] offset1:2
	ds_write2_b64 v26, v[12:13], v[14:15] offset1:2
	v_lshlrev_b32_e32 v26, 1, v83
	v_sub_f32_e32 v10, v16, v47
	v_sub_f32_e32 v11, v17, v48
	v_and_or_b32 v26, v26, s4, v32
	v_fma_f32 v8, v16, 2.0, -v10
	v_fma_f32 v9, v17, 2.0, -v11
	v_lshl_add_u32 v26, v26, 3, 0
	ds_write2_b64 v26, v[8:9], v[10:11] offset1:2
	s_movk_i32 s4, 0x7fc
	v_lshlrev_b32_e32 v26, 1, v78
	v_sub_f32_e32 v2, v18, v49
	v_sub_f32_e32 v3, v19, v50
	v_and_or_b32 v26, v26, s4, v32
	v_fma_f32 v0, v18, 2.0, -v2
	v_fma_f32 v1, v19, 2.0, -v3
	v_lshl_add_u32 v26, v26, 3, 0
	ds_write2_b64 v26, v[0:1], v[2:3] offset1:2
	s_movk_i32 s4, 0x4fc
	v_lshlrev_b32_e32 v26, 1, v80
	v_sub_f32_e32 v7, v27, v52
	v_and_or_b32 v26, v26, s4, v32
	v_fma_f32 v5, v27, 2.0, -v7
	v_lshl_add_u32 v26, v26, 3, 0
	ds_write2_b64 v26, v[4:5], v[6:7] offset1:2
	v_lshlrev_b32_e32 v26, 1, v82
	v_sub_f32_e32 v18, v28, v53
	v_sub_f32_e32 v19, v29, v54
	v_and_or_b32 v26, v26, s4, v32
	v_fma_f32 v16, v28, 2.0, -v18
	v_fma_f32 v17, v29, 2.0, -v19
	v_lshl_add_u32 v26, v26, 3, 0
	ds_write2_b64 v26, v[16:17], v[18:19] offset1:2
	s_waitcnt lgkmcnt(0)
	; wave barrier
	s_waitcnt lgkmcnt(0)
	v_add_u32_e32 v26, 0x1c00, v97
	ds_read_b64 v[95:96], v97 offset:9216
	ds_read2_b64 v[68:71], v23 offset0:64 offset1:160
	ds_read2_b64 v[52:55], v26 offset0:64 offset1:160
	ds_read2_b64 v[48:51], v97 offset1:96
	ds_read2_b64 v[64:67], v25 offset0:128 offset1:224
	ds_read2_b64 v[60:63], v20 offset0:64 offset1:160
	ds_read2_b64 v[56:59], v22 offset1:96
                                        ; implicit-def: $vgpr23
	s_and_saveexec_b64 s[4:5], vcc
	s_cbranch_execz .LBB0_15
; %bb.14:
	ds_read_b64 v[93:94], v103
	ds_read2_b64 v[12:15], v97 offset0:148 offset1:244
	ds_read2_b64 v[8:11], v25 offset0:84 offset1:180
	;; [unrolled: 1-line block ×6, first 2 shown]
.LBB0_15:
	s_or_b64 exec, exec, s[4:5]
	v_and_b32_e32 v75, 3, v74
	v_mul_u32_u24_e32 v24, 12, v75
	v_lshlrev_b32_e32 v111, 3, v24
	global_load_dwordx4 v[36:39], v111, s[12:13] offset:16
	global_load_dwordx4 v[32:35], v111, s[12:13] offset:32
	;; [unrolled: 1-line block ×6, first 2 shown]
	v_sub_u32_e32 v112, 0, v109
	v_sub_u32_e32 v111, 0, v110
	;; [unrolled: 1-line block ×6, first 2 shown]
	s_mov_b32 s6, 0x3f62ad3f
	s_mov_b32 s7, 0x3f116cb1
	;; [unrolled: 1-line block ×6, first 2 shown]
	s_waitcnt lgkmcnt(0)
	; wave barrier
	s_waitcnt vmcnt(5) lgkmcnt(0)
	v_mul_f32_e32 v114, v37, v51
	v_mul_f32_e32 v115, v37, v50
	;; [unrolled: 1-line block ×4, first 2 shown]
	s_waitcnt vmcnt(1)
	v_mul_f32_e32 v133, v52, v43
	s_waitcnt vmcnt(0)
	v_mul_f32_e32 v134, v55, v45
	v_mul_f32_e32 v135, v54, v45
	;; [unrolled: 1-line block ×3, first 2 shown]
	v_fma_f32 v50, v36, v50, -v114
	v_fmac_f32_e32 v115, v36, v51
	v_mul_f32_e32 v118, v33, v71
	v_mul_f32_e32 v119, v33, v70
	;; [unrolled: 1-line block ×7, first 2 shown]
	v_fma_f32 v68, v38, v68, -v116
	v_fmac_f32_e32 v117, v38, v69
	v_fmac_f32_e32 v133, v53, v42
	v_fma_f32 v53, v54, v44, -v134
	v_fmac_f32_e32 v135, v55, v44
	v_fma_f32 v51, v95, v46, -v136
	v_add_f32_e32 v54, v50, v48
	v_add_f32_e32 v55, v115, v49
	v_mul_f32_e32 v120, v35, v65
	v_mul_f32_e32 v121, v35, v64
	;; [unrolled: 1-line block ×6, first 2 shown]
	v_fma_f32 v69, v32, v70, -v118
	v_fmac_f32_e32 v119, v32, v71
	v_fmac_f32_e32 v125, v30, v61
	v_fma_f32 v61, v24, v62, -v126
	v_fmac_f32_e32 v129, v26, v57
	v_fma_f32 v57, v58, v40, -v130
	v_add_f32_e32 v58, v50, v51
	v_sub_f32_e32 v62, v50, v51
	v_add_f32_e32 v50, v54, v68
	v_add_f32_e32 v54, v55, v117
	v_mul_f32_e32 v122, v29, v67
	v_mul_f32_e32 v123, v29, v66
	v_fma_f32 v64, v34, v64, -v120
	v_fmac_f32_e32 v121, v34, v65
	v_add_f32_e32 v50, v50, v69
	v_add_f32_e32 v54, v54, v119
	v_fma_f32 v65, v28, v66, -v122
	v_fmac_f32_e32 v123, v28, v67
	v_add_f32_e32 v50, v50, v64
	v_add_f32_e32 v54, v54, v121
	v_fma_f32 v60, v30, v60, -v124
	v_add_f32_e32 v50, v50, v65
	v_add_f32_e32 v54, v54, v123
	v_fmac_f32_e32 v127, v24, v63
	v_add_f32_e32 v50, v50, v60
	v_add_f32_e32 v54, v54, v125
	v_fma_f32 v56, v26, v56, -v128
	v_add_f32_e32 v50, v50, v61
	v_add_f32_e32 v54, v54, v127
	v_mul_f32_e32 v137, v95, v47
	v_fmac_f32_e32 v131, v59, v40
	v_add_f32_e32 v50, v50, v56
	v_add_f32_e32 v54, v54, v129
	v_fma_f32 v52, v52, v42, -v132
	v_fmac_f32_e32 v137, v96, v46
	v_mul_f32_e32 v66, 0xbeedf032, v62
	v_add_f32_e32 v50, v50, v57
	v_add_f32_e32 v54, v54, v131
	;; [unrolled: 1-line block ×3, first 2 shown]
	v_mov_b32_e32 v70, v66
	v_add_f32_e32 v50, v50, v52
	v_add_f32_e32 v54, v54, v133
	v_sub_f32_e32 v63, v115, v137
	v_add_f32_e32 v50, v50, v53
	v_add_f32_e32 v54, v54, v135
	v_fmac_f32_e32 v70, 0x3f62ad3f, v59
	v_mul_f32_e32 v95, 0xbf52af12, v62
	v_mul_f32_e32 v116, 0xbf7e222b, v62
	;; [unrolled: 1-line block ×6, first 2 shown]
	v_add_f32_e32 v50, v50, v51
	v_add_f32_e32 v51, v54, v137
	;; [unrolled: 1-line block ×3, first 2 shown]
	v_mul_f32_e32 v70, 0xbf52af12, v63
	v_mov_b32_e32 v96, v95
	v_mul_f32_e32 v114, 0xbf7e222b, v63
	v_mov_b32_e32 v118, v116
	;; [unrolled: 2-line block ×5, first 2 shown]
	v_fma_f32 v67, v58, s6, -v55
	v_fmac_f32_e32 v55, 0x3f62ad3f, v58
	v_fma_f32 v66, v59, s6, -v66
	v_fma_f32 v71, v58, s7, -v70
	v_fmac_f32_e32 v96, 0x3f116cb1, v59
	v_fmac_f32_e32 v70, 0x3f116cb1, v58
	v_fma_f32 v95, v59, s7, -v95
	v_fma_f32 v115, v58, s8, -v114
	v_fmac_f32_e32 v118, 0x3df6dbef, v59
	;; [unrolled: 4-line block ×5, first 2 shown]
	v_fmac_f32_e32 v63, 0xbf788fa5, v58
	v_fma_f32 v58, v59, s15, -v62
	v_sub_f32_e32 v62, v117, v135
	v_add_f32_e32 v67, v67, v48
	v_add_f32_e32 v55, v55, v48
	;; [unrolled: 1-line block ×24, first 2 shown]
	v_mul_f32_e32 v63, 0xbf52af12, v62
	v_sub_f32_e32 v53, v68, v53
	v_fma_f32 v68, v58, s7, -v63
	v_add_f32_e32 v59, v117, v135
	v_add_f32_e32 v67, v68, v67
	v_mul_f32_e32 v68, 0xbf52af12, v53
	v_fmac_f32_e32 v63, 0x3f116cb1, v58
	v_add_f32_e32 v55, v63, v55
	v_fma_f32 v63, v59, s7, -v68
	v_add_f32_e32 v63, v63, v66
	v_mul_f32_e32 v66, 0xbf6f5d39, v62
	v_mov_b32_e32 v117, v68
	v_fma_f32 v68, v58, s9, -v66
	v_fmac_f32_e32 v117, 0x3f116cb1, v59
	v_add_f32_e32 v68, v68, v71
	v_mul_f32_e32 v71, 0xbf6f5d39, v53
	v_fmac_f32_e32 v66, 0xbeb58ec6, v58
	v_add_f32_e32 v54, v117, v54
	v_mov_b32_e32 v117, v71
	v_add_f32_e32 v66, v66, v70
	v_fma_f32 v70, v59, s9, -v71
	v_mul_f32_e32 v71, 0xbe750f2a, v62
	v_add_f32_e32 v70, v70, v95
	v_fma_f32 v95, v58, s15, -v71
	v_fmac_f32_e32 v117, 0xbeb58ec6, v59
	v_add_f32_e32 v95, v95, v115
	v_mul_f32_e32 v115, 0xbe750f2a, v53
	v_add_f32_e32 v96, v117, v96
	v_mov_b32_e32 v117, v115
	v_fmac_f32_e32 v71, 0xbf788fa5, v58
	v_fmac_f32_e32 v117, 0xbf788fa5, v59
	v_add_f32_e32 v71, v71, v114
	v_fma_f32 v114, v59, s15, -v115
	v_mul_f32_e32 v115, 0x3f29c268, v62
	v_add_f32_e32 v117, v117, v118
	v_add_f32_e32 v114, v114, v116
	v_fma_f32 v116, v58, s14, -v115
	v_mul_f32_e32 v118, 0x3f29c268, v53
	v_add_f32_e32 v116, v116, v122
	v_mov_b32_e32 v122, v118
	v_fmac_f32_e32 v115, 0xbf3f9e67, v58
	v_fmac_f32_e32 v122, 0xbf3f9e67, v59
	v_add_f32_e32 v115, v115, v120
	v_fma_f32 v118, v59, s14, -v118
	v_mul_f32_e32 v120, 0x3f7e222b, v62
	v_add_f32_e32 v122, v122, v126
	v_add_f32_e32 v118, v118, v124
	v_fma_f32 v124, v58, s8, -v120
	v_mul_f32_e32 v126, 0x3f7e222b, v53
	v_add_f32_e32 v124, v124, v130
	v_mov_b32_e32 v130, v126
	v_fma_f32 v126, v59, s8, -v126
	v_mul_f32_e32 v53, 0x3eedf032, v53
	v_fmac_f32_e32 v120, 0x3df6dbef, v58
	v_add_f32_e32 v126, v126, v132
	v_mul_f32_e32 v62, 0x3eedf032, v62
	v_mov_b32_e32 v132, v53
	v_fmac_f32_e32 v130, 0x3df6dbef, v59
	v_add_f32_e32 v120, v120, v128
	v_fma_f32 v128, v58, s6, -v62
	v_fmac_f32_e32 v132, 0x3f62ad3f, v59
	v_fmac_f32_e32 v62, 0x3f62ad3f, v58
	v_fma_f32 v53, v59, s6, -v53
	v_sub_f32_e32 v59, v119, v133
	v_add_f32_e32 v48, v62, v48
	v_add_f32_e32 v49, v53, v49
	;; [unrolled: 1-line block ×3, first 2 shown]
	v_mul_f32_e32 v62, 0xbf7e222b, v59
	v_sub_f32_e32 v52, v69, v52
	v_fma_f32 v69, v53, s8, -v62
	v_add_f32_e32 v58, v119, v133
	v_add_f32_e32 v67, v69, v67
	v_mul_f32_e32 v69, 0xbf7e222b, v52
	v_fmac_f32_e32 v62, 0x3df6dbef, v53
	v_add_f32_e32 v55, v62, v55
	v_fma_f32 v62, v58, s8, -v69
	v_add_f32_e32 v62, v62, v63
	v_mul_f32_e32 v63, 0xbe750f2a, v59
	v_mov_b32_e32 v119, v69
	v_fma_f32 v69, v53, s15, -v63
	v_fmac_f32_e32 v119, 0x3df6dbef, v58
	v_add_f32_e32 v68, v69, v68
	v_mul_f32_e32 v69, 0xbe750f2a, v52
	v_fmac_f32_e32 v63, 0xbf788fa5, v53
	v_add_f32_e32 v54, v119, v54
	v_mov_b32_e32 v119, v69
	v_add_f32_e32 v63, v63, v66
	v_fma_f32 v66, v58, s15, -v69
	v_mul_f32_e32 v69, 0x3f6f5d39, v59
	v_add_f32_e32 v66, v66, v70
	v_fma_f32 v70, v53, s9, -v69
	v_fmac_f32_e32 v119, 0xbf788fa5, v58
	v_add_f32_e32 v70, v70, v95
	v_mul_f32_e32 v95, 0x3f6f5d39, v52
	v_fmac_f32_e32 v69, 0xbeb58ec6, v53
	v_add_f32_e32 v96, v119, v96
	v_mov_b32_e32 v119, v95
	v_add_f32_e32 v69, v69, v71
	v_fma_f32 v71, v58, s9, -v95
	v_mul_f32_e32 v95, 0x3eedf032, v59
	v_add_f32_e32 v71, v71, v114
	v_fma_f32 v114, v53, s6, -v95
	v_fmac_f32_e32 v119, 0xbeb58ec6, v58
	v_add_f32_e32 v114, v114, v116
	v_mul_f32_e32 v116, 0x3eedf032, v52
	v_add_f32_e32 v117, v119, v117
	v_mov_b32_e32 v119, v116
	v_fmac_f32_e32 v95, 0x3f62ad3f, v53
	v_fmac_f32_e32 v119, 0x3f62ad3f, v58
	v_add_f32_e32 v95, v95, v115
	v_fma_f32 v115, v58, s6, -v116
	v_mul_f32_e32 v116, 0xbf52af12, v59
	v_add_f32_e32 v119, v119, v122
	v_add_f32_e32 v115, v115, v118
	v_fma_f32 v118, v53, s7, -v116
	v_mul_f32_e32 v122, 0xbf52af12, v52
	v_fmac_f32_e32 v116, 0x3f116cb1, v53
	v_add_f32_e32 v116, v116, v120
	v_fma_f32 v120, v58, s7, -v122
	v_mul_f32_e32 v52, 0xbf29c268, v52
	v_add_f32_e32 v118, v118, v124
	v_mov_b32_e32 v124, v122
	v_add_f32_e32 v120, v120, v126
	v_mul_f32_e32 v59, 0xbf29c268, v59
	v_mov_b32_e32 v126, v52
	v_fmac_f32_e32 v124, 0x3f116cb1, v58
	v_fma_f32 v122, v53, s14, -v59
	v_fmac_f32_e32 v126, 0xbf3f9e67, v58
	v_fmac_f32_e32 v59, 0xbf3f9e67, v53
	v_fma_f32 v52, v58, s14, -v52
	v_sub_f32_e32 v58, v121, v131
	v_add_f32_e32 v48, v59, v48
	v_add_f32_e32 v49, v52, v49
	;; [unrolled: 1-line block ×3, first 2 shown]
	v_mul_f32_e32 v59, 0xbf6f5d39, v58
	v_sub_f32_e32 v57, v64, v57
	v_fma_f32 v64, v52, s9, -v59
	v_add_f32_e32 v53, v121, v131
	v_add_f32_e32 v64, v64, v67
	v_mul_f32_e32 v67, 0xbf6f5d39, v57
	v_fmac_f32_e32 v59, 0xbeb58ec6, v52
	v_add_f32_e32 v55, v59, v55
	v_fma_f32 v59, v53, s9, -v67
	v_add_f32_e32 v59, v59, v62
	v_mul_f32_e32 v62, 0x3f29c268, v58
	v_mov_b32_e32 v121, v67
	v_fma_f32 v67, v52, s14, -v62
	v_add_f32_e32 v67, v67, v68
	v_mul_f32_e32 v68, 0x3f29c268, v57
	v_fmac_f32_e32 v62, 0xbf3f9e67, v52
	v_add_f32_e32 v62, v62, v63
	v_fma_f32 v63, v53, s14, -v68
	v_fmac_f32_e32 v121, 0xbeb58ec6, v53
	v_add_f32_e32 v63, v63, v66
	v_mul_f32_e32 v66, 0x3eedf032, v58
	v_add_f32_e32 v54, v121, v54
	v_mov_b32_e32 v121, v68
	v_fma_f32 v68, v52, s6, -v66
	v_fmac_f32_e32 v121, 0xbf3f9e67, v53
	v_add_f32_e32 v68, v68, v70
	v_mul_f32_e32 v70, 0x3eedf032, v57
	v_fmac_f32_e32 v66, 0x3f62ad3f, v52
	v_add_f32_e32 v96, v121, v96
	v_mov_b32_e32 v121, v70
	v_add_f32_e32 v66, v66, v69
	v_fma_f32 v69, v53, s6, -v70
	v_mul_f32_e32 v70, 0xbf7e222b, v58
	v_add_f32_e32 v69, v69, v71
	v_fma_f32 v71, v52, s8, -v70
	v_fmac_f32_e32 v121, 0x3f62ad3f, v53
	v_add_f32_e32 v71, v71, v114
	v_mul_f32_e32 v114, 0xbf7e222b, v57
	v_fmac_f32_e32 v70, 0x3df6dbef, v52
	v_add_f32_e32 v117, v121, v117
	v_mov_b32_e32 v121, v114
	v_add_f32_e32 v70, v70, v95
	v_fma_f32 v95, v53, s8, -v114
	v_mul_f32_e32 v114, 0x3e750f2a, v58
	v_add_f32_e32 v95, v95, v115
	v_fma_f32 v115, v52, s15, -v114
	v_add_f32_e32 v115, v115, v118
	v_mul_f32_e32 v118, 0x3e750f2a, v57
	v_fmac_f32_e32 v114, 0xbf788fa5, v52
	v_fmac_f32_e32 v121, 0x3df6dbef, v53
	v_add_f32_e32 v114, v114, v116
	v_fma_f32 v116, v53, s15, -v118
	v_mul_f32_e32 v58, 0x3f52af12, v58
	v_mul_f32_e32 v57, 0x3f52af12, v57
	v_add_f32_e32 v119, v121, v119
	v_mov_b32_e32 v121, v118
	v_add_f32_e32 v116, v116, v120
	v_fma_f32 v118, v52, s7, -v58
	v_mov_b32_e32 v120, v57
	v_fmac_f32_e32 v58, 0x3f116cb1, v52
	v_fma_f32 v52, v53, s7, -v57
	v_sub_f32_e32 v57, v123, v129
	v_add_f32_e32 v48, v58, v48
	v_add_f32_e32 v49, v52, v49
	v_add_f32_e32 v52, v65, v56
	v_mul_f32_e32 v58, 0xbf29c268, v57
	v_sub_f32_e32 v56, v65, v56
	v_fma_f32 v65, v52, s14, -v58
	v_fmac_f32_e32 v121, 0xbf788fa5, v53
	v_fmac_f32_e32 v120, 0x3f116cb1, v53
	v_add_f32_e32 v53, v123, v129
	v_add_f32_e32 v64, v65, v64
	v_mul_f32_e32 v65, 0xbf29c268, v56
	v_fmac_f32_e32 v58, 0xbf3f9e67, v52
	v_add_f32_e32 v128, v128, v136
	v_add_f32_e32 v55, v58, v55
	v_fma_f32 v58, v53, s14, -v65
	v_add_f32_e32 v122, v122, v128
	v_add_f32_e32 v58, v58, v59
	v_mul_f32_e32 v59, 0x3f7e222b, v57
	v_add_f32_e32 v118, v118, v122
	v_mov_b32_e32 v122, v65
	v_fma_f32 v65, v52, s8, -v59
	v_add_f32_e32 v65, v65, v67
	v_mul_f32_e32 v67, 0x3f7e222b, v56
	v_fmac_f32_e32 v59, 0x3df6dbef, v52
	v_add_f32_e32 v59, v59, v62
	v_fma_f32 v62, v53, s8, -v67
	v_fmac_f32_e32 v122, 0xbf3f9e67, v53
	v_add_f32_e32 v62, v62, v63
	v_mul_f32_e32 v63, 0xbf52af12, v57
	v_add_f32_e32 v54, v122, v54
	v_mov_b32_e32 v122, v67
	v_fma_f32 v67, v52, s7, -v63
	v_fmac_f32_e32 v122, 0x3df6dbef, v53
	v_add_f32_e32 v67, v67, v68
	v_mul_f32_e32 v68, 0xbf52af12, v56
	v_fmac_f32_e32 v63, 0x3f116cb1, v52
	v_add_f32_e32 v96, v122, v96
	v_mov_b32_e32 v122, v68
	v_add_f32_e32 v63, v63, v66
	v_fma_f32 v66, v53, s7, -v68
	v_mul_f32_e32 v68, 0x3e750f2a, v57
	v_add_f32_e32 v66, v66, v69
	v_fma_f32 v69, v52, s15, -v68
	v_fmac_f32_e32 v122, 0x3f116cb1, v53
	v_add_f32_e32 v69, v69, v71
	v_mul_f32_e32 v71, 0x3e750f2a, v56
	v_fmac_f32_e32 v68, 0xbf788fa5, v52
	v_add_f32_e32 v117, v122, v117
	v_mov_b32_e32 v122, v71
	v_add_f32_e32 v68, v68, v70
	v_fma_f32 v70, v53, s15, -v71
	v_mul_f32_e32 v71, 0x3eedf032, v57
	v_add_f32_e32 v70, v70, v95
	v_fma_f32 v95, v52, s6, -v71
	v_add_f32_e32 v130, v130, v134
	v_fmac_f32_e32 v122, 0xbf788fa5, v53
	v_add_f32_e32 v95, v95, v115
	v_mul_f32_e32 v115, 0x3eedf032, v56
	v_fmac_f32_e32 v71, 0x3f62ad3f, v52
	v_add_f32_e32 v132, v132, v137
	v_add_f32_e32 v124, v124, v130
	;; [unrolled: 1-line block ×3, first 2 shown]
	v_mov_b32_e32 v122, v115
	v_add_f32_e32 v71, v71, v114
	v_fma_f32 v114, v53, s6, -v115
	v_mul_f32_e32 v57, 0xbf6f5d39, v57
	v_mul_f32_e32 v56, 0xbf6f5d39, v56
	v_add_f32_e32 v126, v126, v132
	v_add_f32_e32 v121, v121, v124
	v_fmac_f32_e32 v122, 0x3f62ad3f, v53
	v_add_f32_e32 v114, v114, v116
	v_fma_f32 v115, v52, s9, -v57
	v_mov_b32_e32 v116, v56
	v_fmac_f32_e32 v57, 0xbeb58ec6, v52
	v_add_f32_e32 v123, v125, v127
	v_sub_f32_e32 v125, v125, v127
	v_add_f32_e32 v120, v120, v126
	v_add_f32_e32 v121, v122, v121
	;; [unrolled: 1-line block ×3, first 2 shown]
	v_fmac_f32_e32 v116, 0xbeb58ec6, v53
	v_add_f32_e32 v118, v57, v48
	v_fma_f32 v48, v53, s9, -v56
	v_add_f32_e32 v122, v60, v61
	v_sub_f32_e32 v124, v60, v61
	v_mul_f32_e32 v52, 0xbe750f2a, v125
	v_add_f32_e32 v116, v116, v120
	v_add_f32_e32 v120, v48, v49
	v_fma_f32 v48, v122, s15, -v52
	v_fmac_f32_e32 v52, 0xbf788fa5, v122
	v_mul_f32_e32 v57, 0x3eedf032, v124
	v_add_f32_e32 v48, v48, v64
	v_mul_f32_e32 v53, 0xbe750f2a, v124
	v_add_f32_e32 v52, v52, v55
	v_mov_b32_e32 v55, v57
	v_fma_f32 v57, v123, s6, -v57
	v_mul_f32_e32 v64, 0x3f52af12, v125
	v_mov_b32_e32 v49, v53
	v_fma_f32 v53, v123, s15, -v53
	v_add_f32_e32 v57, v57, v62
	v_mul_f32_e32 v60, 0xbf29c268, v125
	v_fma_f32 v62, v122, s7, -v64
	v_fmac_f32_e32 v49, 0xbf788fa5, v123
	v_add_f32_e32 v53, v53, v58
	v_mul_f32_e32 v56, 0x3eedf032, v125
	v_fma_f32 v58, v122, s14, -v60
	v_add_f32_e32 v62, v62, v69
	v_mul_f32_e32 v69, 0xbf6f5d39, v124
	v_add_f32_e32 v49, v49, v54
	v_fma_f32 v54, v122, s6, -v56
	v_fmac_f32_e32 v56, 0x3f62ad3f, v122
	v_add_f32_e32 v58, v58, v67
	v_mul_f32_e32 v61, 0xbf29c268, v124
	v_fmac_f32_e32 v64, 0x3f116cb1, v122
	v_mov_b32_e32 v67, v69
	v_fma_f32 v69, v123, s9, -v69
	v_fmac_f32_e32 v55, 0x3f62ad3f, v123
	v_add_f32_e32 v56, v56, v59
	v_mov_b32_e32 v59, v61
	v_fma_f32 v61, v123, s14, -v61
	v_add_f32_e32 v64, v64, v68
	v_mul_f32_e32 v68, 0xbf6f5d39, v125
	v_add_f32_e32 v69, v69, v114
	v_lshrrev_b32_e32 v114, 2, v74
	v_add_f32_e32 v54, v54, v65
	v_add_f32_e32 v55, v55, v96
	v_fmac_f32_e32 v60, 0xbf3f9e67, v122
	v_add_f32_e32 v61, v61, v66
	v_mul_f32_e32 v65, 0x3f52af12, v124
	v_fma_f32 v66, v122, s9, -v68
	v_fmac_f32_e32 v68, 0xbeb58ec6, v122
	v_mul_f32_e32 v96, 0x3f7e222b, v124
	v_mul_u32_u24_e32 v114, 52, v114
	v_add_f32_e32 v60, v60, v63
	v_mov_b32_e32 v63, v65
	v_fma_f32 v65, v123, s7, -v65
	v_add_f32_e32 v66, v66, v95
	v_add_f32_e32 v68, v68, v71
	v_mul_f32_e32 v95, 0x3f7e222b, v125
	v_mov_b32_e32 v71, v96
	v_or_b32_e32 v114, v114, v75
	v_fmac_f32_e32 v59, 0xbf3f9e67, v123
	v_fmac_f32_e32 v63, 0x3f116cb1, v123
	v_add_f32_e32 v65, v65, v70
	v_fmac_f32_e32 v67, 0xbeb58ec6, v123
	v_fma_f32 v70, v122, s8, -v95
	v_fmac_f32_e32 v71, 0x3df6dbef, v123
	v_fmac_f32_e32 v95, 0x3df6dbef, v122
	v_fma_f32 v96, v123, s8, -v96
	v_lshl_add_u32 v114, v114, 3, 0
	v_add_f32_e32 v59, v59, v117
	v_add_f32_e32 v63, v63, v119
	v_add_f32_e32 v67, v67, v121
	v_add_f32_e32 v70, v70, v115
	v_add_f32_e32 v71, v71, v116
	v_add_f32_e32 v95, v95, v118
	v_add_f32_e32 v96, v96, v120
	ds_write2_b64 v114, v[50:51], v[48:49] offset1:4
	ds_write2_b64 v114, v[54:55], v[58:59] offset0:8 offset1:12
	ds_write2_b64 v114, v[62:63], v[66:67] offset0:16 offset1:20
	;; [unrolled: 1-line block ×5, first 2 shown]
	ds_write_b64 v114, v[52:53] offset:384
	s_and_saveexec_b64 s[4:5], vcc
	s_cbranch_execz .LBB0_17
; %bb.16:
	v_mul_f32_e32 v50, v12, v37
	v_fmac_f32_e32 v50, v13, v36
	v_mul_f32_e32 v13, v13, v37
	v_mul_f32_e32 v49, v22, v47
	v_fma_f32 v36, v12, v36, -v13
	v_mul_f32_e32 v12, v23, v47
	v_fmac_f32_e32 v49, v23, v46
	v_fma_f32 v22, v22, v46, -v12
	v_mul_f32_e32 v37, v20, v45
	v_mul_f32_e32 v46, v14, v39
	v_add_f32_e32 v48, v50, v49
	v_fmac_f32_e32 v37, v21, v44
	v_fmac_f32_e32 v46, v15, v38
	v_mul_f32_e32 v15, v15, v39
	v_mul_f32_e32 v39, v8, v33
	v_mul_f32_e32 v51, 0xbeb58ec6, v48
	v_add_f32_e32 v47, v46, v37
	v_fma_f32 v38, v14, v38, -v15
	v_mul_f32_e32 v14, v21, v45
	v_fmac_f32_e32 v39, v9, v32
	v_mul_f32_e32 v9, v9, v33
	v_sub_f32_e32 v23, v36, v22
	v_mov_b32_e32 v12, v51
	v_mul_f32_e32 v13, 0xbf3f9e67, v47
	v_fma_f32 v20, v20, v44, -v14
	v_mul_f32_e32 v21, v18, v43
	v_fma_f32 v32, v8, v32, -v9
	v_mul_f32_e32 v8, v19, v43
	v_fmac_f32_e32 v12, 0x3f6f5d39, v23
	v_sub_f32_e32 v14, v38, v20
	v_mov_b32_e32 v15, v13
	v_fmac_f32_e32 v21, v19, v42
	v_fma_f32 v18, v18, v42, -v8
	v_mul_f32_e32 v33, v16, v41
	v_mul_f32_e32 v42, v10, v35
	v_add_f32_e32 v12, v94, v12
	v_fmac_f32_e32 v15, 0xbf29c268, v14
	v_add_f32_e32 v44, v39, v21
	v_fmac_f32_e32 v33, v17, v40
	v_fmac_f32_e32 v42, v11, v34
	v_mul_f32_e32 v11, v11, v35
	v_add_f32_e32 v12, v15, v12
	v_mul_f32_e32 v15, 0x3f62ad3f, v44
	v_add_f32_e32 v43, v42, v33
	v_fma_f32 v34, v10, v34, -v11
	v_mul_f32_e32 v10, v17, v41
	v_sub_f32_e32 v19, v32, v18
	v_mov_b32_e32 v8, v15
	v_mul_f32_e32 v9, 0x3df6dbef, v43
	v_fma_f32 v16, v16, v40, -v10
	v_mul_f32_e32 v35, v6, v27
	v_mul_f32_e32 v40, v0, v29
	v_fmac_f32_e32 v8, 0xbeedf032, v19
	v_sub_f32_e32 v17, v34, v16
	v_mov_b32_e32 v10, v9
	v_fmac_f32_e32 v35, v7, v26
	v_fmac_f32_e32 v40, v1, v28
	v_mul_f32_e32 v1, v1, v29
	v_add_f32_e32 v8, v8, v12
	v_fmac_f32_e32 v10, 0x3f7e222b, v17
	v_add_f32_e32 v41, v40, v35
	v_fma_f32 v28, v0, v28, -v1
	v_mul_f32_e32 v0, v7, v27
	v_add_f32_e32 v8, v10, v8
	v_mul_f32_e32 v10, 0xbf788fa5, v41
	v_fma_f32 v26, v6, v26, -v0
	v_mul_f32_e32 v29, v4, v25
	v_mul_f32_e32 v45, v2, v31
	v_sub_f32_e32 v27, v28, v26
	v_mov_b32_e32 v0, v10
	v_fmac_f32_e32 v29, v5, v24
	v_fmac_f32_e32 v45, v3, v30
	v_mul_f32_e32 v1, v3, v31
	v_fmac_f32_e32 v0, 0xbe750f2a, v27
	v_add_f32_e32 v52, v45, v29
	v_fma_f32 v30, v2, v30, -v1
	v_mul_f32_e32 v1, v5, v25
	v_add_f32_e32 v0, v0, v8
	v_mul_f32_e32 v8, 0x3f116cb1, v52
	v_fma_f32 v24, v4, v24, -v1
	v_sub_f32_e32 v25, v30, v24
	v_mov_b32_e32 v1, v8
	v_sub_f32_e32 v53, v50, v49
	v_fmac_f32_e32 v1, 0xbf52af12, v25
	v_mul_f32_e32 v11, 0xbf6f5d39, v53
	v_sub_f32_e32 v55, v46, v37
	v_add_f32_e32 v1, v1, v0
	v_add_f32_e32 v31, v36, v22
	v_mov_b32_e32 v0, v11
	v_mul_f32_e32 v12, 0x3f29c268, v55
	v_fmac_f32_e32 v0, 0xbeb58ec6, v31
	v_add_f32_e32 v54, v38, v20
	v_mov_b32_e32 v2, v12
	v_sub_f32_e32 v57, v39, v21
	v_add_f32_e32 v0, v93, v0
	v_fmac_f32_e32 v2, 0xbf3f9e67, v54
	v_mul_f32_e32 v58, 0x3eedf032, v57
	v_add_f32_e32 v0, v2, v0
	v_add_f32_e32 v56, v32, v18
	v_mov_b32_e32 v2, v58
	v_sub_f32_e32 v60, v42, v33
	v_fmac_f32_e32 v2, 0x3f62ad3f, v56
	v_mul_f32_e32 v61, 0xbf7e222b, v60
	v_add_f32_e32 v0, v2, v0
	v_add_f32_e32 v59, v34, v16
	v_mov_b32_e32 v2, v61
	v_sub_f32_e32 v63, v40, v35
	;; [unrolled: 6-line block ×3, first 2 shown]
	v_fmac_f32_e32 v2, 0xbf788fa5, v62
	v_mul_f32_e32 v67, 0x3f52af12, v66
	v_add_f32_e32 v0, v2, v0
	v_add_f32_e32 v65, v30, v24
	v_mov_b32_e32 v2, v67
	v_fmac_f32_e32 v2, 0x3f116cb1, v65
	v_mul_f32_e32 v4, 0xbf788fa5, v48
	v_add_f32_e32 v0, v2, v0
	v_mov_b32_e32 v2, v4
	v_mul_f32_e32 v5, 0x3f62ad3f, v47
	v_fmac_f32_e32 v2, 0x3e750f2a, v23
	v_mov_b32_e32 v3, v5
	v_add_f32_e32 v2, v94, v2
	v_fmac_f32_e32 v3, 0xbeedf032, v14
	v_mul_f32_e32 v6, 0xbf3f9e67, v44
	v_add_f32_e32 v2, v3, v2
	v_mov_b32_e32 v3, v6
	v_fmac_f32_e32 v3, 0x3f29c268, v19
	v_mul_f32_e32 v7, 0x3f116cb1, v43
	v_add_f32_e32 v2, v3, v2
	v_mov_b32_e32 v3, v7
	;; [unrolled: 4-line block ×5, first 2 shown]
	v_mul_f32_e32 v71, 0x3eedf032, v55
	v_fmac_f32_e32 v2, 0xbf788fa5, v31
	v_mov_b32_e32 v95, v71
	v_add_f32_e32 v2, v93, v2
	v_fmac_f32_e32 v95, 0x3f62ad3f, v54
	v_fmac_f32_e32 v4, 0xbe750f2a, v23
	v_add_f32_e32 v2, v95, v2
	v_mul_f32_e32 v95, 0xbf29c268, v57
	v_add_f32_e32 v4, v94, v4
	v_fmac_f32_e32 v5, 0x3eedf032, v14
	v_mov_b32_e32 v96, v95
	v_add_f32_e32 v4, v5, v4
	v_fmac_f32_e32 v6, 0xbf29c268, v19
	v_fmac_f32_e32 v96, 0xbf3f9e67, v56
	v_add_f32_e32 v4, v6, v4
	v_fmac_f32_e32 v7, 0x3f52af12, v17
	v_add_f32_e32 v2, v96, v2
	v_mul_f32_e32 v96, 0x3f52af12, v60
	v_add_f32_e32 v4, v7, v4
	v_fmac_f32_e32 v68, 0xbf6f5d39, v27
	v_mov_b32_e32 v114, v96
	v_add_f32_e32 v4, v68, v4
	v_fmac_f32_e32 v69, 0x3f7e222b, v25
	v_fmac_f32_e32 v114, 0x3f116cb1, v59
	v_add_f32_e32 v5, v69, v4
	v_fma_f32 v4, v31, s15, -v70
	v_add_f32_e32 v2, v114, v2
	v_mul_f32_e32 v114, 0xbf6f5d39, v63
	v_add_f32_e32 v4, v93, v4
	v_fma_f32 v6, v54, s6, -v71
	v_mov_b32_e32 v115, v114
	v_add_f32_e32 v4, v6, v4
	v_fma_f32 v6, v56, s14, -v95
	v_fmac_f32_e32 v115, 0xbeb58ec6, v62
	v_add_f32_e32 v4, v6, v4
	v_fma_f32 v6, v59, s7, -v96
	v_add_f32_e32 v2, v115, v2
	v_mul_f32_e32 v115, 0x3f7e222b, v66
	v_add_f32_e32 v4, v6, v4
	v_fma_f32 v6, v62, s9, -v114
	v_add_f32_e32 v4, v6, v4
	v_fma_f32 v6, v65, s8, -v115
	v_mul_f32_e32 v68, 0xbf29c268, v23
	v_add_f32_e32 v4, v6, v4
	v_mov_b32_e32 v6, v68
	v_mul_f32_e32 v69, 0x3f7e222b, v14
	v_fmac_f32_e32 v6, 0xbf3f9e67, v48
	v_mov_b32_e32 v7, v69
	v_fmac_f32_e32 v51, 0xbf6f5d39, v23
	v_add_f32_e32 v6, v94, v6
	v_fmac_f32_e32 v7, 0x3df6dbef, v47
	v_mul_f32_e32 v70, 0xbf52af12, v19
	v_add_f32_e32 v51, v94, v51
	v_fmac_f32_e32 v13, 0x3f29c268, v14
	v_add_f32_e32 v6, v7, v6
	v_mov_b32_e32 v7, v70
	v_add_f32_e32 v13, v13, v51
	v_fmac_f32_e32 v15, 0x3eedf032, v19
	v_fmac_f32_e32 v7, 0x3f116cb1, v44
	v_mul_f32_e32 v71, 0x3e750f2a, v17
	v_add_f32_e32 v13, v15, v13
	v_fmac_f32_e32 v9, 0xbf7e222b, v17
	v_add_f32_e32 v6, v7, v6
	v_mov_b32_e32 v7, v71
	v_add_f32_e32 v9, v9, v13
	v_fmac_f32_e32 v10, 0x3e750f2a, v27
	v_fmac_f32_e32 v7, 0xbf788fa5, v43
	v_mul_f32_e32 v95, 0x3eedf032, v27
	v_add_f32_e32 v9, v10, v9
	v_fmac_f32_e32 v8, 0x3f52af12, v25
	v_add_f32_e32 v6, v7, v6
	v_mov_b32_e32 v7, v95
	v_add_f32_e32 v9, v8, v9
	v_fma_f32 v8, v31, s9, -v11
	v_fmac_f32_e32 v7, 0x3f62ad3f, v41
	v_mul_f32_e32 v96, 0xbf6f5d39, v25
	v_add_f32_e32 v8, v93, v8
	v_fma_f32 v10, v54, s14, -v12
	v_add_f32_e32 v6, v7, v6
	v_mov_b32_e32 v7, v96
	v_add_f32_e32 v8, v10, v8
	v_fma_f32 v10, v56, s6, -v58
	v_mov_b32_e32 v116, v115
	v_fmac_f32_e32 v7, 0xbeb58ec6, v52
	v_mul_f32_e32 v114, 0xbf29c268, v53
	v_add_f32_e32 v8, v10, v8
	v_fma_f32 v10, v59, s8, -v61
	v_fmac_f32_e32 v116, 0x3df6dbef, v65
	v_add_f32_e32 v7, v7, v6
	v_fma_f32 v6, v31, s14, -v114
	v_mul_f32_e32 v115, 0x3f7e222b, v55
	v_add_f32_e32 v8, v10, v8
	v_fma_f32 v10, v62, s15, -v64
	v_add_f32_e32 v2, v116, v2
	v_add_f32_e32 v6, v93, v6
	v_fma_f32 v116, v54, s8, -v115
	v_add_f32_e32 v8, v10, v8
	v_fma_f32 v10, v65, s7, -v67
	v_mul_f32_e32 v51, 0xbf7e222b, v23
	v_add_f32_e32 v6, v116, v6
	v_mul_f32_e32 v116, 0xbf52af12, v57
	v_add_f32_e32 v8, v10, v8
	v_mov_b32_e32 v10, v51
	v_mul_f32_e32 v58, 0xbe750f2a, v14
	v_fma_f32 v117, v56, s7, -v116
	v_fmac_f32_e32 v10, 0x3df6dbef, v48
	v_mov_b32_e32 v11, v58
	v_add_f32_e32 v6, v117, v6
	v_mul_f32_e32 v117, 0x3e750f2a, v60
	v_add_f32_e32 v10, v94, v10
	v_fmac_f32_e32 v11, 0xbf788fa5, v47
	v_mul_f32_e32 v61, 0x3f6f5d39, v19
	v_fma_f32 v118, v59, s15, -v117
	v_add_f32_e32 v10, v11, v10
	v_mov_b32_e32 v11, v61
	v_add_f32_e32 v6, v118, v6
	v_mul_f32_e32 v118, 0x3eedf032, v63
	v_fmac_f32_e32 v11, 0xbeb58ec6, v44
	v_mul_f32_e32 v64, 0x3eedf032, v17
	v_fma_f32 v119, v62, s6, -v118
	v_add_f32_e32 v10, v11, v10
	v_mov_b32_e32 v11, v64
	v_add_f32_e32 v6, v119, v6
	v_mul_f32_e32 v119, 0xbf6f5d39, v66
	v_fmac_f32_e32 v11, 0x3f62ad3f, v43
	v_mul_f32_e32 v67, 0xbf52af12, v27
	v_fma_f32 v120, v65, s9, -v119
	v_add_f32_e32 v10, v11, v10
	v_mov_b32_e32 v11, v67
	v_add_f32_e32 v6, v120, v6
	v_fmac_f32_e32 v11, 0x3f116cb1, v41
	v_mul_f32_e32 v120, 0xbf29c268, v25
	v_add_f32_e32 v10, v11, v10
	v_mov_b32_e32 v11, v120
	v_fmac_f32_e32 v11, 0xbf3f9e67, v52
	v_mul_f32_e32 v121, 0xbf7e222b, v53
	v_add_f32_e32 v11, v11, v10
	v_fma_f32 v10, v31, s8, -v121
	v_mul_f32_e32 v122, 0xbe750f2a, v55
	v_add_f32_e32 v10, v93, v10
	v_fma_f32 v12, v54, s15, -v122
	;; [unrolled: 3-line block ×6, first 2 shown]
	v_mul_f32_e32 v127, 0xbf52af12, v23
	v_add_f32_e32 v10, v12, v10
	v_mov_b32_e32 v12, v127
	v_mul_f32_e32 v128, 0xbf6f5d39, v14
	v_fmac_f32_e32 v12, 0x3f116cb1, v48
	v_mov_b32_e32 v13, v128
	v_add_f32_e32 v12, v94, v12
	v_fmac_f32_e32 v13, 0xbeb58ec6, v47
	v_mul_f32_e32 v129, 0xbe750f2a, v19
	v_add_f32_e32 v12, v13, v12
	v_mov_b32_e32 v13, v129
	v_fmac_f32_e32 v13, 0xbf788fa5, v44
	v_mul_f32_e32 v130, 0x3f29c268, v17
	v_add_f32_e32 v12, v13, v12
	v_mov_b32_e32 v13, v130
	;; [unrolled: 4-line block ×4, first 2 shown]
	v_fmac_f32_e32 v13, 0x3f62ad3f, v52
	v_mul_f32_e32 v133, 0xbf52af12, v53
	v_add_f32_e32 v13, v13, v12
	v_fma_f32 v12, v31, s7, -v133
	v_mul_f32_e32 v134, 0xbf6f5d39, v55
	v_add_f32_e32 v12, v93, v12
	v_fma_f32 v15, v54, s9, -v134
	;; [unrolled: 3-line block ×6, first 2 shown]
	v_mul_f32_e32 v139, 0xbeedf032, v23
	v_add_f32_e32 v12, v15, v12
	v_mov_b32_e32 v15, v139
	v_mul_f32_e32 v140, 0xbf52af12, v14
	v_fmac_f32_e32 v15, 0x3f62ad3f, v48
	v_mov_b32_e32 v14, v140
	v_add_f32_e32 v15, v94, v15
	v_fmac_f32_e32 v14, 0x3f116cb1, v47
	v_mul_f32_e32 v141, 0xbf7e222b, v19
	v_add_f32_e32 v14, v14, v15
	v_mov_b32_e32 v15, v141
	v_fmac_f32_e32 v15, 0x3df6dbef, v44
	v_mul_f32_e32 v142, 0xbf6f5d39, v17
	v_add_f32_e32 v14, v15, v14
	v_mov_b32_e32 v15, v142
	v_fmac_f32_e32 v15, 0xbeb58ec6, v43
	v_mul_f32_e32 v27, 0xbf29c268, v27
	v_add_f32_e32 v14, v15, v14
	v_mov_b32_e32 v15, v27
	v_fmac_f32_e32 v15, 0xbf3f9e67, v41
	v_mul_f32_e32 v25, 0xbe750f2a, v25
	v_add_f32_e32 v14, v15, v14
	v_mov_b32_e32 v15, v25
	v_fmac_f32_e32 v15, 0xbf788fa5, v52
	v_mul_f32_e32 v53, 0xbeedf032, v53
	v_add_f32_e32 v15, v15, v14
	v_fma_f32 v14, v31, s6, -v53
	v_mul_f32_e32 v55, 0xbf52af12, v55
	v_add_f32_e32 v14, v93, v14
	v_fma_f32 v17, v54, s7, -v55
	v_mul_f32_e32 v57, 0xbf7e222b, v57
	v_add_f32_e32 v14, v17, v14
	v_fma_f32 v17, v56, s8, -v57
	v_mul_f32_e32 v60, 0xbf6f5d39, v60
	v_add_f32_e32 v14, v17, v14
	v_fma_f32 v17, v59, s9, -v60
	v_mul_f32_e32 v63, 0xbf29c268, v63
	v_add_f32_e32 v19, v93, v36
	v_add_f32_e32 v14, v17, v14
	v_fma_f32 v17, v62, s14, -v63
	v_mul_f32_e32 v66, 0xbe750f2a, v66
	v_add_f32_e32 v19, v19, v38
	v_add_f32_e32 v14, v17, v14
	v_fma_f32 v17, v65, s15, -v66
	v_add_f32_e32 v19, v19, v32
	v_add_f32_e32 v14, v17, v14
	;; [unrolled: 1-line block ×18, first 2 shown]
	v_fma_f32 v24, v48, s6, -v139
	v_add_f32_e32 v17, v17, v33
	v_add_f32_e32 v16, v16, v22
	v_fma_f32 v18, v48, s14, -v68
	v_fma_f32 v20, v48, s8, -v51
	;; [unrolled: 1-line block ×3, first 2 shown]
	v_add_f32_e32 v24, v94, v24
	v_fma_f32 v26, v47, s7, -v140
	v_add_f32_e32 v17, v17, v21
	v_add_f32_e32 v18, v94, v18
	v_fma_f32 v19, v47, s8, -v69
	v_add_f32_e32 v20, v94, v20
	v_fma_f32 v21, v47, s15, -v58
	;; [unrolled: 2-line block ×15, first 2 shown]
	v_add_f32_e32 v24, v26, v24
	v_lshrrev_b32_e32 v26, 2, v90
	v_add_f32_e32 v18, v19, v18
	v_fma_f32 v19, v52, s9, -v96
	v_fmac_f32_e32 v114, 0xbf3f9e67, v31
	v_add_f32_e32 v20, v21, v20
	v_fma_f32 v21, v52, s14, -v120
	v_fmac_f32_e32 v121, 0x3df6dbef, v31
	;; [unrolled: 3-line block ×3, first 2 shown]
	v_fma_f32 v25, v52, s15, -v25
	v_fmac_f32_e32 v53, 0x3f62ad3f, v31
	v_mul_lo_u32 v26, v26, 52
	v_add_f32_e32 v19, v19, v18
	v_add_f32_e32 v18, v93, v114
	v_fmac_f32_e32 v115, 0x3df6dbef, v54
	v_add_f32_e32 v21, v21, v20
	v_add_f32_e32 v20, v93, v121
	v_fmac_f32_e32 v122, 0xbf788fa5, v54
	;; [unrolled: 3-line block ×4, first 2 shown]
	v_add_f32_e32 v18, v115, v18
	v_fmac_f32_e32 v116, 0x3f116cb1, v56
	v_add_f32_e32 v20, v122, v20
	v_fmac_f32_e32 v123, 0xbeb58ec6, v56
	;; [unrolled: 2-line block ×8, first 2 shown]
	v_add_f32_e32 v17, v17, v37
	v_add_f32_e32 v18, v117, v18
	v_fmac_f32_e32 v118, 0x3f62ad3f, v62
	v_add_f32_e32 v20, v124, v20
	v_fmac_f32_e32 v125, 0x3f116cb1, v62
	;; [unrolled: 2-line block ×4, first 2 shown]
	v_or_b32_e32 v26, v26, v75
	v_add_f32_e32 v17, v17, v49
	v_add_f32_e32 v18, v118, v18
	v_fmac_f32_e32 v119, 0xbeb58ec6, v65
	v_add_f32_e32 v20, v125, v20
	v_fmac_f32_e32 v126, 0xbf3f9e67, v65
	;; [unrolled: 2-line block ×4, first 2 shown]
	v_lshl_add_u32 v26, v26, 3, 0
	v_add_f32_e32 v18, v119, v18
	v_add_f32_e32 v20, v126, v20
	;; [unrolled: 1-line block ×4, first 2 shown]
	ds_write2_b64 v26, v[16:17], v[14:15] offset1:4
	ds_write2_b64 v26, v[12:13], v[10:11] offset0:8 offset1:12
	ds_write2_b64 v26, v[8:9], v[6:7] offset0:16 offset1:20
	;; [unrolled: 1-line block ×5, first 2 shown]
	ds_write_b64 v26, v[24:25] offset:384
.LBB0_17:
	s_or_b64 exec, exec, s[4:5]
	s_movk_i32 s4, 0x4f
	v_mul_lo_u16_sdwa v4, v89, s4 dst_sel:DWORD dst_unused:UNUSED_PAD src0_sel:BYTE_0 src1_sel:DWORD
	v_lshrrev_b16_e32 v4, 12, v4
	v_mul_lo_u16_e32 v4, 52, v4
	v_sub_u16_e32 v4, v89, v4
	v_mov_b32_e32 v5, 3
	v_lshlrev_b32_sdwa v71, v5, v4 dst_sel:DWORD dst_unused:UNUSED_PAD src0_sel:DWORD src1_sel:BYTE_0
	v_mul_lo_u16_sdwa v4, v88, s4 dst_sel:DWORD dst_unused:UNUSED_PAD src0_sel:BYTE_0 src1_sel:DWORD
	v_lshrrev_b16_e32 v4, 12, v4
	v_mul_lo_u16_e32 v4, 52, v4
	s_movk_i32 s4, 0x4ec5
	v_sub_u16_e32 v4, v88, v4
	v_mul_u32_u24_sdwa v115, v87, s4 dst_sel:DWORD dst_unused:UNUSED_PAD src0_sel:WORD_0 src1_sel:DWORD
	v_lshlrev_b32_sdwa v114, v5, v4 dst_sel:DWORD dst_unused:UNUSED_PAD src0_sel:DWORD src1_sel:BYTE_0
	v_lshrrev_b32_e32 v4, 20, v115
	v_mul_lo_u16_e32 v4, 52, v4
	v_sub_u16_e32 v4, v87, v4
	v_mul_u32_u24_sdwa v117, v86, s4 dst_sel:DWORD dst_unused:UNUSED_PAD src0_sel:WORD_0 src1_sel:DWORD
	v_lshlrev_b32_e32 v116, 3, v4
	v_lshrrev_b32_e32 v4, 20, v117
	v_mul_lo_u16_e32 v4, 52, v4
	v_sub_u16_e32 v4, v86, v4
	v_mul_u32_u24_sdwa v119, v85, s4 dst_sel:DWORD dst_unused:UNUSED_PAD src0_sel:WORD_0 src1_sel:DWORD
	v_lshlrev_b32_e32 v118, 3, v4
	;; [unrolled: 5-line block ×3, first 2 shown]
	v_lshrrev_b32_e32 v4, 20, v121
	v_mul_lo_u16_e32 v4, 52, v4
	v_sub_u16_e32 v4, v84, v4
	v_lshlrev_b32_e32 v122, 3, v4
	v_mul_u32_u24_sdwa v4, v83, s4 dst_sel:DWORD dst_unused:UNUSED_PAD src0_sel:WORD_0 src1_sel:DWORD
	v_lshrrev_b32_e32 v4, 20, v4
	v_mul_lo_u16_e32 v4, 52, v4
	v_sub_u16_e32 v4, v83, v4
	v_mov_b32_e32 v75, 0
	v_lshlrev_b32_e32 v123, 3, v4
	v_mul_u32_u24_sdwa v4, v78, s4 dst_sel:DWORD dst_unused:UNUSED_PAD src0_sel:WORD_0 src1_sel:DWORD
	v_lshlrev_b64 v[0:1], 3, v[74:75]
	v_lshrrev_b32_e32 v4, 20, v4
	v_mul_lo_u16_e32 v4, 52, v4
	v_mov_b32_e32 v24, s13
	v_add_co_u32_e32 v2, vcc, s12, v0
	v_sub_u16_e32 v4, v78, v4
	v_addc_co_u32_e32 v3, vcc, v24, v1, vcc
	v_lshlrev_b32_e32 v124, 3, v4
	v_mul_u32_u24_sdwa v4, v80, s4 dst_sel:DWORD dst_unused:UNUSED_PAD src0_sel:WORD_0 src1_sel:DWORD
	s_waitcnt lgkmcnt(0)
	; wave barrier
	s_waitcnt lgkmcnt(0)
	global_load_dwordx2 v[39:40], v[2:3], off offset:400
	global_load_dwordx2 v[41:42], v71, s[12:13] offset:400
	global_load_dwordx2 v[43:44], v114, s[12:13] offset:400
	;; [unrolled: 1-line block ×3, first 2 shown]
	v_lshrrev_b32_e32 v4, 20, v4
	v_mul_lo_u16_e32 v4, 52, v4
	global_load_dwordx2 v[47:48], v118, s[12:13] offset:400
	v_sub_u16_e32 v4, v80, v4
	v_lshlrev_b32_e32 v125, 3, v4
	v_mul_u32_u24_sdwa v4, v82, s4 dst_sel:DWORD dst_unused:UNUSED_PAD src0_sel:WORD_0 src1_sel:DWORD
	v_lshrrev_b32_e32 v4, 20, v4
	global_load_dwordx2 v[49:50], v120, s[12:13] offset:400
	global_load_dwordx2 v[51:52], v122, s[12:13] offset:400
	;; [unrolled: 1-line block ×3, first 2 shown]
	v_mul_lo_u16_e32 v4, 52, v4
	global_load_dwordx2 v[55:56], v124, s[12:13] offset:400
	global_load_dwordx2 v[57:58], v125, s[12:13] offset:400
	v_sub_u16_e32 v4, v82, v4
	v_lshlrev_b32_e32 v126, 3, v4
	global_load_dwordx2 v[59:60], v126, s[12:13] offset:400
	v_add_u32_e32 v25, 0x1000, v97
	ds_read2_b64 v[4:7], v25 offset0:112 offset1:164
	v_add_u32_e32 v26, 0x1400, v97
	v_add_u32_e32 v27, 0x1800, v97
	ds_read2_b64 v[8:11], v26 offset0:88 offset1:140
	ds_read_b64 v[61:62], v97
	ds_read_b64 v[63:64], v103
	;; [unrolled: 1-line block ×4, first 2 shown]
	ds_read2_b64 v[12:15], v27 offset0:64 offset1:116
	v_add_u32_e32 v33, v79, v113
	ds_read2_b64 v[16:19], v27 offset0:168 offset1:220
	v_add_u32_e32 v32, v81, v112
	v_add_u32_e32 v34, 0x2000, v97
	ds_read_b64 v[69:70], v100
	ds_read_b64 v[93:94], v98
	ds_read_b64 v[95:96], v33
	ds_read_b64 v[112:113], v32
	ds_read2_b64 v[20:23], v34 offset0:16 offset1:68
	ds_read2_b64 v[35:38], v34 offset0:120 offset1:172
	v_add_u32_e32 v31, v104, v111
	v_add_u32_e32 v30, v105, v109
	;; [unrolled: 1-line block ×4, first 2 shown]
	ds_read_b64 v[104:105], v31
	ds_read_b64 v[106:107], v30
	;; [unrolled: 1-line block ×4, first 2 shown]
	s_waitcnt lgkmcnt(0)
	; wave barrier
	s_waitcnt lgkmcnt(0)
	s_movk_i32 s4, 0x1000
	s_add_u32 s6, s12, 0x26f0
	s_addc_u32 s7, s13, 0
	s_waitcnt vmcnt(10)
	v_mul_f32_e32 v79, v40, v5
	v_fma_f32 v79, v39, v4, -v79
	v_mul_f32_e32 v81, v40, v4
	v_mul_f32_e32 v4, v40, v7
	v_fma_f32 v127, v39, v6, -v4
	v_mul_f32_e32 v40, v40, v6
	s_waitcnt vmcnt(9)
	v_mul_f32_e32 v4, v42, v9
	v_fmac_f32_e32 v81, v39, v5
	v_fmac_f32_e32 v40, v39, v7
	v_fma_f32 v39, v41, v8, -v4
	v_mul_f32_e32 v42, v42, v8
	s_waitcnt vmcnt(8)
	v_mul_f32_e32 v4, v11, v44
	v_fmac_f32_e32 v42, v41, v9
	v_fma_f32 v41, v10, v43, -v4
	v_mul_f32_e32 v44, v10, v44
	s_waitcnt vmcnt(7)
	v_mul_f32_e32 v4, v13, v46
	;; [unrolled: 5-line block ×8, first 2 shown]
	v_fmac_f32_e32 v56, v23, v55
	v_fma_f32 v55, v35, v57, -v4
	s_waitcnt vmcnt(0)
	v_mul_f32_e32 v4, v38, v60
	v_fma_f32 v128, v37, v59, -v4
	v_sub_f32_e32 v4, v61, v79
	v_sub_f32_e32 v5, v62, v81
	v_fma_f32 v6, v61, 2.0, -v4
	v_fma_f32 v7, v62, 2.0, -v5
	v_sub_f32_e32 v8, v63, v127
	v_sub_f32_e32 v9, v64, v40
	v_fma_f32 v10, v63, 2.0, -v8
	v_fma_f32 v11, v64, 2.0, -v9
	v_sub_f32_e32 v12, v65, v39
	v_sub_f32_e32 v13, v66, v42
	ds_write2_b64 v97, v[6:7], v[4:5] offset1:52
	ds_write2_b64 v97, v[10:11], v[8:9] offset0:104 offset1:156
	v_add_u32_e32 v4, 0, v71
	v_fma_f32 v14, v65, 2.0, -v12
	v_fma_f32 v15, v66, 2.0, -v13
	v_add_u32_e32 v4, 0x400, v4
	v_sub_f32_e32 v16, v67, v41
	v_sub_f32_e32 v17, v68, v44
	ds_write2_b64 v4, v[14:15], v[12:13] offset0:80 offset1:132
	v_add_u32_e32 v4, 0, v114
	v_fma_f32 v18, v67, 2.0, -v16
	v_fma_f32 v19, v68, 2.0, -v17
	v_add_u32_e32 v4, 0x800, v4
	v_sub_f32_e32 v20, v69, v43
	v_sub_f32_e32 v21, v70, v46
	ds_write2_b64 v4, v[18:19], v[16:17] offset0:56 offset1:108
	v_add_u32_e32 v4, 0, v116
	v_mul_f32_e32 v58, v35, v58
	v_fma_f32 v22, v69, 2.0, -v20
	v_fma_f32 v23, v70, 2.0, -v21
	v_add_u32_e32 v4, 0x800, v4
	v_fmac_f32_e32 v58, v36, v57
	v_mul_f32_e32 v60, v37, v60
	v_sub_f32_e32 v35, v93, v45
	v_sub_f32_e32 v36, v94, v48
	ds_write2_b64 v4, v[22:23], v[20:21] offset0:160 offset1:212
	v_add_u32_e32 v4, 0, v118
	v_fmac_f32_e32 v60, v38, v59
	v_fma_f32 v37, v93, 2.0, -v35
	v_fma_f32 v38, v94, 2.0, -v36
	v_add_u32_e32 v4, 0x1000, v4
	v_sub_f32_e32 v39, v95, v47
	v_sub_f32_e32 v40, v96, v50
	ds_write2_b64 v4, v[37:38], v[35:36] offset0:8 offset1:60
	v_add_u32_e32 v4, 0, v120
	v_fma_f32 v41, v95, 2.0, -v39
	v_fma_f32 v42, v96, 2.0, -v40
	v_add_u32_e32 v4, 0x1000, v4
	v_sub_f32_e32 v43, v112, v49
	v_sub_f32_e32 v44, v113, v52
	ds_write2_b64 v4, v[41:42], v[39:40] offset0:112 offset1:164
	v_add_u32_e32 v4, 0, v122
	;; [unrolled: 7-line block ×6, first 2 shown]
	v_fma_f32 v61, v110, 2.0, -v59
	v_fma_f32 v62, v111, 2.0, -v60
	v_add_u32_e32 v4, 0x2000, v4
	v_mov_b32_e32 v93, v75
	ds_write2_b64 v4, v[61:62], v[59:60] offset0:120 offset1:172
	v_lshlrev_b64 v[4:5], 3, v[92:93]
	v_mov_b32_e32 v92, v75
	v_add_co_u32_e32 v4, vcc, s12, v4
	v_addc_co_u32_e32 v5, vcc, v24, v5, vcc
	s_waitcnt lgkmcnt(0)
	; wave barrier
	s_waitcnt lgkmcnt(0)
	global_load_dwordx4 v[4:7], v[4:5], off offset:816
	v_lshlrev_b64 v[8:9], 3, v[91:92]
	v_lshrrev_b32_e32 v12, 21, v115
	v_add_co_u32_e32 v8, vcc, s12, v8
	v_addc_co_u32_e32 v9, vcc, v24, v9, vcc
	global_load_dwordx4 v[8:11], v[8:9], off offset:816
	v_mul_lo_u16_e32 v12, 0x68, v12
	v_sub_u16_e32 v71, v87, v12
	v_lshrrev_b32_e32 v16, 21, v117
	v_lshlrev_b32_e32 v12, 4, v71
	v_mul_lo_u16_e32 v16, 0x68, v16
	global_load_dwordx4 v[12:15], v12, s[12:13] offset:816
	v_sub_u16_e32 v79, v86, v16
	v_lshrrev_b32_e32 v20, 21, v119
	v_lshlrev_b32_e32 v16, 4, v79
	global_load_dwordx4 v[16:19], v16, s[12:13] offset:816
	v_mul_lo_u16_e32 v20, 0x68, v20
	v_sub_u16_e32 v81, v85, v20
	v_lshrrev_b32_e32 v35, 21, v121
	v_lshlrev_b32_e32 v20, 4, v81
	v_mul_lo_u16_e32 v35, 0x68, v35
	global_load_dwordx4 v[20:23], v20, s[12:13] offset:816
	v_sub_u16_e32 v114, v84, v35
	v_lshlrev_b32_e32 v35, 4, v114
	global_load_dwordx4 v[35:38], v35, s[12:13] offset:816
	ds_read_b64 v[67:68], v97
	ds_read_b64 v[69:70], v31
	ds_read2_b64 v[39:42], v27 offset0:12 offset1:64
	v_add_u32_e32 v43, 0xc00, v97
	ds_read2_b64 v[43:46], v43 offset0:84 offset1:136
	ds_read2_b64 v[47:50], v27 offset0:116 offset1:168
	ds_read_b64 v[91:92], v102
	ds_read2_b64 v[51:54], v25 offset0:60 offset1:112
	v_add_u32_e32 v55, 0x1c00, v97
	ds_read2_b64 v[55:58], v55 offset0:92 offset1:144
	ds_read2_b64 v[59:62], v25 offset0:164 offset1:216
	;; [unrolled: 1-line block ×3, first 2 shown]
	ds_read_b64 v[93:94], v101
	ds_read_b64 v[95:96], v100
	;; [unrolled: 1-line block ×6, first 2 shown]
	ds_read_b64 v[112:113], v97 offset:9568
	s_waitcnt lgkmcnt(0)
	; wave barrier
	s_waitcnt vmcnt(5) lgkmcnt(0)
	v_mul_f32_e32 v115, v5, v70
	v_fma_f32 v115, v4, v69, -v115
	v_mul_f32_e32 v69, v5, v69
	v_fmac_f32_e32 v69, v4, v70
	v_mul_f32_e32 v70, v7, v42
	v_fma_f32 v70, v6, v41, -v70
	v_mul_f32_e32 v41, v7, v41
	v_fmac_f32_e32 v41, v6, v42
	s_waitcnt vmcnt(4)
	v_mul_f32_e32 v42, v9, v44
	v_fma_f32 v42, v8, v43, -v42
	v_mul_f32_e32 v43, v9, v43
	v_fmac_f32_e32 v43, v8, v44
	v_mul_f32_e32 v44, v48, v11
	v_fma_f32 v44, v47, v10, -v44
	v_mul_f32_e32 v47, v47, v11
	v_fmac_f32_e32 v47, v48, v10
	;; [unrolled: 4-line block ×3, first 2 shown]
	v_mul_f32_e32 v4, v50, v7
	v_fma_f32 v46, v49, v6, -v4
	v_mul_f32_e32 v49, v49, v7
	v_mul_f32_e32 v4, v52, v9
	v_fmac_f32_e32 v49, v50, v6
	v_fma_f32 v50, v51, v8, -v4
	v_mul_f32_e32 v51, v51, v9
	v_mul_f32_e32 v4, v56, v11
	v_fmac_f32_e32 v51, v52, v8
	v_fma_f32 v52, v55, v10, -v4
	v_mul_f32_e32 v55, v55, v11
	s_waitcnt vmcnt(3)
	v_mul_f32_e32 v4, v54, v13
	v_fmac_f32_e32 v55, v56, v10
	v_fma_f32 v56, v53, v12, -v4
	v_mul_f32_e32 v53, v53, v13
	v_mul_f32_e32 v4, v58, v15
	v_fmac_f32_e32 v53, v54, v12
	v_fma_f32 v54, v57, v14, -v4
	v_mul_f32_e32 v57, v57, v15
	s_waitcnt vmcnt(2)
	;; [unrolled: 9-line block ×4, first 2 shown]
	v_mul_f32_e32 v4, v40, v36
	v_fmac_f32_e32 v65, v66, v22
	v_fma_f32 v66, v39, v35, -v4
	v_mul_f32_e32 v4, v113, v38
	v_add_f32_e32 v5, v115, v70
	v_fma_f32 v117, v112, v37, -v4
	v_add_f32_e32 v4, v67, v115
	v_fma_f32 v67, -0.5, v5, v67
	v_sub_f32_e32 v5, v69, v41
	v_mov_b32_e32 v6, v67
	v_add_f32_e32 v7, v69, v41
	v_fmac_f32_e32 v6, 0x3f5db3d7, v5
	v_fmac_f32_e32 v67, 0xbf5db3d7, v5
	v_add_f32_e32 v5, v68, v69
	v_fmac_f32_e32 v68, -0.5, v7
	v_sub_f32_e32 v8, v115, v70
	v_mov_b32_e32 v7, v68
	v_add_f32_e32 v9, v42, v44
	v_fmac_f32_e32 v7, 0xbf5db3d7, v8
	v_fmac_f32_e32 v68, 0x3f5db3d7, v8
	v_add_f32_e32 v8, v110, v42
	v_fma_f32 v110, -0.5, v9, v110
	v_sub_f32_e32 v9, v43, v47
	v_mov_b32_e32 v10, v110
	v_add_f32_e32 v11, v43, v47
	v_fmac_f32_e32 v10, 0x3f5db3d7, v9
	v_fmac_f32_e32 v110, 0xbf5db3d7, v9
	v_add_f32_e32 v9, v111, v43
	v_fmac_f32_e32 v111, -0.5, v11
	v_sub_f32_e32 v12, v42, v44
	v_mov_b32_e32 v11, v111
	v_add_f32_e32 v13, v48, v46
	v_fmac_f32_e32 v11, 0xbf5db3d7, v12
	v_fmac_f32_e32 v111, 0x3f5db3d7, v12
	;; [unrolled: 14-line block ×4, first 2 shown]
	v_add_f32_e32 v20, v95, v56
	v_fma_f32 v95, -0.5, v21, v95
	v_sub_f32_e32 v21, v53, v57
	v_mov_b32_e32 v22, v95
	v_add_f32_e32 v23, v53, v57
	v_mul_f32_e32 v116, v39, v36
	v_fmac_f32_e32 v22, 0x3f5db3d7, v21
	v_fmac_f32_e32 v95, 0xbf5db3d7, v21
	v_add_f32_e32 v21, v96, v53
	v_fmac_f32_e32 v96, -0.5, v23
	v_fmac_f32_e32 v116, v40, v35
	v_sub_f32_e32 v35, v56, v54
	v_mov_b32_e32 v23, v96
	v_add_f32_e32 v36, v58, v60
	v_mul_f32_e32 v112, v112, v38
	v_fmac_f32_e32 v23, 0xbf5db3d7, v35
	v_fmac_f32_e32 v96, 0x3f5db3d7, v35
	v_add_f32_e32 v35, v104, v58
	v_fma_f32 v104, -0.5, v36, v104
	v_fmac_f32_e32 v112, v113, v37
	v_sub_f32_e32 v36, v59, v63
	v_mov_b32_e32 v37, v104
	v_add_f32_e32 v38, v59, v63
	v_add_f32_e32 v4, v4, v70
	;; [unrolled: 1-line block ×3, first 2 shown]
	v_fmac_f32_e32 v37, 0x3f5db3d7, v36
	v_fmac_f32_e32 v104, 0xbf5db3d7, v36
	v_add_f32_e32 v36, v105, v59
	v_fmac_f32_e32 v105, -0.5, v38
	v_add_f32_e32 v8, v8, v44
	v_add_f32_e32 v9, v9, v47
	;; [unrolled: 1-line block ×4, first 2 shown]
	v_sub_f32_e32 v39, v58, v60
	v_mov_b32_e32 v38, v105
	v_add_f32_e32 v40, v64, v62
	ds_write2_b64 v97, v[4:5], v[6:7] offset1:104
	ds_write_b64 v97, v[67:68] offset:1664
	ds_write2_b64 v103, v[8:9], v[10:11] offset1:104
	ds_write_b64 v103, v[110:111] offset:1664
	v_add_u32_e32 v4, 0x800, v97
	v_add_f32_e32 v16, v16, v52
	v_add_f32_e32 v17, v17, v55
	v_fmac_f32_e32 v38, 0xbf5db3d7, v39
	v_fmac_f32_e32 v105, 0x3f5db3d7, v39
	v_add_f32_e32 v39, v106, v64
	v_fma_f32 v106, -0.5, v40, v106
	ds_write2_b64 v4, v[12:13], v[14:15] offset0:56 offset1:160
	ds_write_b64 v97, v[91:92] offset:4160
	v_add_u32_e32 v4, 0x800, v103
	v_sub_f32_e32 v40, v61, v65
	v_mov_b32_e32 v41, v106
	v_add_f32_e32 v42, v61, v65
	ds_write2_b64 v4, v[16:17], v[18:19] offset0:56 offset1:160
	ds_write_b64 v103, v[93:94] offset:4160
	v_lshl_add_u32 v4, v71, 3, 0
	v_mov_b32_e32 v91, v75
	v_add_f32_e32 v20, v20, v54
	v_add_f32_e32 v21, v21, v57
	v_fmac_f32_e32 v41, 0x3f5db3d7, v40
	v_fmac_f32_e32 v106, 0xbf5db3d7, v40
	v_add_f32_e32 v40, v107, v61
	v_fmac_f32_e32 v107, -0.5, v42
	v_add_u32_e32 v5, 0x1000, v4
	v_lshlrev_b64 v[12:13], 3, v[90:91]
	v_sub_f32_e32 v43, v64, v62
	v_mov_b32_e32 v42, v107
	v_add_f32_e32 v44, v66, v117
	ds_write2_b64 v5, v[20:21], v[22:23] offset0:112 offset1:216
	ds_write_b64 v4, v[95:96] offset:6656
	v_lshl_add_u32 v4, v79, 3, 0
	v_mov_b32_e32 v90, v75
	v_add_f32_e32 v35, v35, v60
	v_add_f32_e32 v36, v36, v63
	v_fmac_f32_e32 v42, 0xbf5db3d7, v43
	v_fmac_f32_e32 v107, 0x3f5db3d7, v43
	v_add_f32_e32 v43, v108, v66
	v_fma_f32 v108, -0.5, v44, v108
	v_add_u32_e32 v5, 0x1000, v4
	v_add_co_u32_e32 v51, vcc, s12, v12
	v_lshlrev_b64 v[10:11], 3, v[89:90]
	v_sub_f32_e32 v44, v116, v112
	v_mov_b32_e32 v45, v108
	v_add_f32_e32 v46, v116, v112
	ds_write2_b64 v5, v[35:36], v[37:38] offset0:112 offset1:216
	ds_write_b64 v4, v[104:105] offset:6656
	v_lshl_add_u32 v4, v81, 3, 0
	v_addc_co_u32_e32 v52, vcc, v24, v13, vcc
	v_mov_b32_e32 v89, v75
	v_add_f32_e32 v39, v39, v62
	v_add_f32_e32 v40, v40, v65
	v_fmac_f32_e32 v45, 0x3f5db3d7, v44
	v_fmac_f32_e32 v108, 0xbf5db3d7, v44
	v_add_f32_e32 v44, v109, v116
	v_fmac_f32_e32 v109, -0.5, v46
	v_add_u32_e32 v5, 0x1c00, v4
	v_add_co_u32_e32 v53, vcc, s12, v10
	v_lshlrev_b64 v[8:9], 3, v[88:89]
	v_sub_f32_e32 v47, v66, v117
	v_mov_b32_e32 v46, v109
	ds_write2_b64 v5, v[39:40], v[41:42] offset0:40 offset1:144
	ds_write_b64 v4, v[106:107] offset:9152
	v_lshl_add_u32 v4, v114, 3, 0
	v_addc_co_u32_e32 v54, vcc, v24, v11, vcc
	v_mov_b32_e32 v88, v75
	v_add_f32_e32 v43, v43, v117
	v_add_f32_e32 v44, v44, v112
	v_fmac_f32_e32 v46, 0xbf5db3d7, v47
	v_add_u32_e32 v5, 0x1c00, v4
	v_add_co_u32_e32 v55, vcc, s12, v8
	v_lshlrev_b64 v[6:7], 3, v[87:88]
	v_fmac_f32_e32 v109, 0x3f5db3d7, v47
	ds_write2_b64 v5, v[43:44], v[45:46] offset0:40 offset1:144
	ds_write_b64 v4, v[108:109] offset:9152
	s_waitcnt lgkmcnt(0)
	; wave barrier
	s_waitcnt lgkmcnt(0)
	global_load_dwordx2 v[22:23], v[2:3], off offset:2480
	v_addc_co_u32_e32 v56, vcc, v24, v9, vcc
	v_mov_b32_e32 v87, v75
	v_add_co_u32_e32 v63, vcc, s12, v6
	v_lshlrev_b64 v[4:5], 3, v[86:87]
	v_addc_co_u32_e32 v64, vcc, v24, v7, vcc
	global_load_dwordx2 v[57:58], v[51:52], off offset:2480
	global_load_dwordx2 v[59:60], v[53:54], off offset:2480
	;; [unrolled: 1-line block ×3, first 2 shown]
	v_add_co_u32_e32 v67, vcc, s12, v4
	global_load_dwordx2 v[65:66], v[63:64], off offset:2480
	v_addc_co_u32_e32 v68, vcc, v24, v5, vcc
	global_load_dwordx2 v[69:70], v[67:68], off offset:2480
	ds_read2_b64 v[14:17], v25 offset0:112 offset1:164
	ds_read2_b64 v[18:21], v26 offset0:88 offset1:140
	ds_read_b64 v[86:87], v97
	ds_read_b64 v[88:89], v103
	ds_read_b64 v[90:91], v102
	ds_read_b64 v[92:93], v101
	ds_read2_b64 v[35:38], v27 offset0:64 offset1:116
	ds_read2_b64 v[39:42], v27 offset0:168 offset1:220
	ds_read_b64 v[94:95], v100
	ds_read_b64 v[104:105], v98
	ds_read_b64 v[106:107], v33
	ds_read_b64 v[108:109], v32
	;; [unrolled: 6-line block ×3, first 2 shown]
	v_add_co_u32_e32 v2, vcc, s4, v2
	v_addc_co_u32_e32 v3, vcc, 0, v3, vcc
	s_waitcnt lgkmcnt(0)
	; wave barrier
	s_waitcnt vmcnt(5) lgkmcnt(0)
	v_mul_f32_e32 v71, v23, v15
	v_fma_f32 v71, v22, v14, -v71
	v_mul_f32_e32 v79, v23, v14
	v_fmac_f32_e32 v79, v22, v15
	v_mul_f32_e32 v127, v39, v23
	v_fmac_f32_e32 v127, v40, v22
	v_sub_f32_e32 v15, v87, v79
	s_waitcnt vmcnt(4)
	v_mul_f32_e32 v14, v58, v17
	v_fma_f32 v81, v57, v16, -v14
	s_waitcnt vmcnt(3)
	v_mul_f32_e32 v14, v60, v19
	v_fma_f32 v118, v59, v18, -v14
	;; [unrolled: 3-line block ×5, first 2 shown]
	v_mul_f32_e32 v14, v40, v23
	v_fma_f32 v126, v39, v22, -v14
	v_mul_f32_e32 v14, v42, v58
	v_fma_f32 v128, v41, v57, -v14
	;; [unrolled: 2-line block ×3, first 2 shown]
	v_mul_f32_e32 v14, v46, v62
	v_mul_f32_e32 v119, v60, v18
	;; [unrolled: 1-line block ×3, first 2 shown]
	v_fma_f32 v132, v45, v61, -v14
	v_mul_f32_e32 v14, v48, v66
	v_mul_f32_e32 v96, v58, v16
	v_fmac_f32_e32 v119, v59, v19
	v_mul_f32_e32 v121, v20, v62
	v_fmac_f32_e32 v123, v36, v65
	v_mul_f32_e32 v125, v37, v70
	v_mul_f32_e32 v129, v41, v58
	;; [unrolled: 1-line block ×4, first 2 shown]
	v_fma_f32 v134, v47, v65, -v14
	v_mul_f32_e32 v135, v47, v66
	v_mul_f32_e32 v14, v50, v70
	;; [unrolled: 1-line block ×3, first 2 shown]
	v_fmac_f32_e32 v96, v57, v17
	v_fmac_f32_e32 v121, v21, v61
	;; [unrolled: 1-line block ×7, first 2 shown]
	v_fma_f32 v136, v49, v69, -v14
	v_fmac_f32_e32 v137, v50, v69
	v_sub_f32_e32 v14, v86, v71
	v_sub_f32_e32 v22, v90, v118
	;; [unrolled: 1-line block ×5, first 2 shown]
	v_fma_f32 v16, v86, 2.0, -v14
	v_fma_f32 v17, v87, 2.0, -v15
	v_sub_f32_e32 v18, v88, v81
	v_sub_f32_e32 v19, v89, v96
	v_fma_f32 v35, v90, 2.0, -v22
	v_fma_f32 v36, v91, 2.0, -v23
	v_sub_f32_e32 v37, v92, v120
	v_sub_f32_e32 v38, v93, v121
	;; [unrolled: 4-line block ×3, first 2 shown]
	v_sub_f32_e32 v49, v106, v126
	v_sub_f32_e32 v50, v107, v127
	;; [unrolled: 1-line block ×12, first 2 shown]
	v_fma_f32 v20, v88, 2.0, -v18
	v_fma_f32 v21, v89, 2.0, -v19
	v_fma_f32 v39, v92, 2.0, -v37
	v_fma_f32 v40, v93, 2.0, -v38
	v_fma_f32 v47, v104, 2.0, -v45
	v_fma_f32 v48, v105, 2.0, -v46
	v_fma_f32 v57, v106, 2.0, -v49
	v_fma_f32 v58, v107, 2.0, -v50
	v_fma_f32 v61, v108, 2.0, -v59
	v_fma_f32 v62, v109, 2.0, -v60
	v_fma_f32 v69, v110, 2.0, -v65
	v_fma_f32 v70, v111, 2.0, -v66
	v_fma_f32 v88, v112, 2.0, -v86
	v_fma_f32 v89, v113, 2.0, -v87
	v_fma_f32 v92, v114, 2.0, -v90
	v_fma_f32 v93, v115, 2.0, -v91
	v_fma_f32 v104, v116, 2.0, -v94
	v_fma_f32 v105, v117, 2.0, -v95
	ds_write_b64 v97, v[16:17]
	ds_write_b64 v97, v[14:15] offset:2496
	ds_write_b64 v103, v[20:21]
	ds_write_b64 v103, v[18:19] offset:2496
	;; [unrolled: 2-line block ×6, first 2 shown]
	ds_write_b64 v97, v[57:58] offset:4992
	ds_write_b64 v97, v[49:50] offset:7488
	;; [unrolled: 1-line block ×12, first 2 shown]
	v_add_co_u32_e32 v14, vcc, s4, v51
	v_addc_co_u32_e32 v15, vcc, 0, v52, vcc
	v_add_co_u32_e32 v16, vcc, s4, v53
	v_addc_co_u32_e32 v17, vcc, 0, v54, vcc
	v_add_co_u32_e32 v18, vcc, s4, v55
	v_addc_co_u32_e32 v19, vcc, 0, v56, vcc
	s_waitcnt lgkmcnt(0)
	; wave barrier
	s_waitcnt lgkmcnt(0)
	global_load_dwordx2 v[55:56], v[2:3], off offset:880
	global_load_dwordx2 v[57:58], v[14:15], off offset:880
	;; [unrolled: 1-line block ×4, first 2 shown]
	v_add_co_u32_e32 v2, vcc, s4, v63
	v_addc_co_u32_e32 v3, vcc, 0, v64, vcc
	v_mov_b32_e32 v86, v75
	v_add_co_u32_e32 v14, vcc, s4, v67
	v_lshlrev_b64 v[22:23], 3, v[85:86]
	v_addc_co_u32_e32 v15, vcc, 0, v68, vcc
	v_add_co_u32_e32 v16, vcc, s12, v22
	v_addc_co_u32_e32 v17, vcc, v24, v23, vcc
	v_mov_b32_e32 v85, v75
	v_add_co_u32_e32 v16, vcc, s4, v16
	v_lshlrev_b64 v[20:21], 3, v[84:85]
	v_addc_co_u32_e32 v17, vcc, 0, v17, vcc
	v_add_co_u32_e32 v18, vcc, s12, v20
	v_addc_co_u32_e32 v19, vcc, v24, v21, vcc
	v_add_co_u32_e32 v18, vcc, s4, v18
	v_addc_co_u32_e32 v19, vcc, 0, v19, vcc
	v_mov_b32_e32 v84, v75
	global_load_dwordx2 v[63:64], v[2:3], off offset:880
	global_load_dwordx2 v[65:66], v[14:15], off offset:880
	;; [unrolled: 1-line block ×4, first 2 shown]
	v_lshlrev_b64 v[18:19], 3, v[83:84]
	v_mov_b32_e32 v79, v75
	v_add_co_u32_e32 v2, vcc, s12, v18
	v_addc_co_u32_e32 v3, vcc, v24, v19, vcc
	v_add_co_u32_e32 v2, vcc, s4, v2
	v_lshlrev_b64 v[16:17], 3, v[78:79]
	v_addc_co_u32_e32 v3, vcc, 0, v3, vcc
	v_add_co_u32_e32 v14, vcc, s12, v16
	v_addc_co_u32_e32 v15, vcc, v24, v17, vcc
	v_add_co_u32_e32 v35, vcc, s4, v14
	v_mov_b32_e32 v81, v75
	v_addc_co_u32_e32 v36, vcc, 0, v15, vcc
	v_lshlrev_b64 v[14:15], 3, v[80:81]
	v_mov_b32_e32 v83, v75
	v_add_co_u32_e32 v37, vcc, s12, v14
	v_addc_co_u32_e32 v38, vcc, v24, v15, vcc
	v_add_co_u32_e32 v37, vcc, s4, v37
	v_addc_co_u32_e32 v38, vcc, 0, v38, vcc
	global_load_dwordx2 v[78:79], v[2:3], off offset:880
	global_load_dwordx2 v[80:81], v[35:36], off offset:880
	;; [unrolled: 1-line block ×3, first 2 shown]
	v_lshlrev_b64 v[2:3], 3, v[82:83]
	v_add_co_u32_e32 v35, vcc, s12, v2
	v_addc_co_u32_e32 v24, vcc, v24, v3, vcc
	v_add_co_u32_e32 v35, vcc, s4, v35
	v_addc_co_u32_e32 v36, vcc, 0, v24, vcc
	global_load_dwordx2 v[82:83], v[35:36], off offset:880
	ds_read2_b64 v[35:38], v25 offset0:112 offset1:164
	ds_read2_b64 v[39:42], v26 offset0:88 offset1:140
	ds_read_b64 v[86:87], v97
	ds_read_b64 v[88:89], v103
	ds_read_b64 v[90:91], v102
	ds_read_b64 v[92:93], v101
	ds_read2_b64 v[43:46], v27 offset0:64 offset1:116
	ds_read2_b64 v[24:27], v27 offset0:168 offset1:220
	ds_read_b64 v[94:95], v100
	ds_read_b64 v[104:105], v98
	ds_read_b64 v[106:107], v33
	ds_read_b64 v[108:109], v32
	;; [unrolled: 6-line block ×3, first 2 shown]
	s_waitcnt lgkmcnt(0)
	; wave barrier
	s_waitcnt lgkmcnt(0)
	v_cmp_ne_u32_e32 vcc, 0, v74
	s_waitcnt vmcnt(11)
	v_mul_f32_e32 v34, v56, v36
	v_fma_f32 v34, v55, v35, -v34
	v_mul_f32_e32 v35, v56, v35
	v_fmac_f32_e32 v35, v55, v36
	s_waitcnt vmcnt(10)
	v_mul_f32_e32 v36, v58, v38
	v_fma_f32 v36, v57, v37, -v36
	v_mul_f32_e32 v37, v58, v37
	v_fmac_f32_e32 v37, v57, v38
	;; [unrolled: 5-line block ×4, first 2 shown]
	v_sub_f32_e32 v38, v90, v38
	v_sub_f32_e32 v39, v91, v39
	;; [unrolled: 1-line block ×3, first 2 shown]
	v_fma_f32 v41, v91, 2.0, -v39
	s_waitcnt vmcnt(7)
	v_mul_f32_e32 v40, v44, v64
	v_fma_f32 v57, v43, v63, -v40
	s_waitcnt vmcnt(6)
	v_mul_f32_e32 v40, v46, v66
	v_fma_f32 v59, v45, v65, -v40
	s_waitcnt vmcnt(5)
	v_mul_f32_e32 v40, v25, v68
	v_mul_f32_e32 v58, v43, v64
	v_fma_f32 v61, v24, v67, -v40
	v_mul_f32_e32 v62, v24, v68
	s_waitcnt vmcnt(4)
	v_mul_f32_e32 v24, v27, v70
	v_fmac_f32_e32 v58, v44, v63
	v_mul_f32_e32 v60, v45, v66
	v_fma_f32 v63, v26, v69, -v24
	v_fmac_f32_e32 v60, v46, v65
	v_fmac_f32_e32 v62, v25, v67
	v_mul_f32_e32 v64, v26, v70
	v_fmac_f32_e32 v64, v27, v69
	v_sub_f32_e32 v25, v87, v35
	v_fma_f32 v27, v87, 2.0, -v25
	v_sub_f32_e32 v35, v89, v37
	v_sub_f32_e32 v43, v93, v56
	v_sub_f32_e32 v46, v94, v57
	v_sub_f32_e32 v55, v107, v62
	v_fma_f32 v37, v89, 2.0, -v35
	v_fma_f32 v40, v90, 2.0, -v38
	v_fma_f32 v44, v92, 2.0, -v42
	v_fma_f32 v45, v93, 2.0, -v43
	v_fma_f32 v57, v107, 2.0, -v55
	s_waitcnt vmcnt(3)
	v_mul_f32_e32 v24, v48, v79
	v_fma_f32 v65, v47, v78, -v24
	s_waitcnt vmcnt(2)
	v_mul_f32_e32 v24, v50, v81
	v_fma_f32 v67, v49, v80, -v24
	s_waitcnt vmcnt(1)
	v_mul_f32_e32 v24, v52, v85
	v_mul_f32_e32 v66, v47, v79
	;; [unrolled: 1-line block ×3, first 2 shown]
	v_fma_f32 v70, v51, v84, -v24
	v_mul_f32_e32 v71, v51, v85
	v_fmac_f32_e32 v66, v48, v78
	v_fmac_f32_e32 v68, v50, v80
	;; [unrolled: 1-line block ×3, first 2 shown]
	v_sub_f32_e32 v47, v95, v58
	s_waitcnt vmcnt(0)
	v_mul_f32_e32 v24, v54, v83
	v_mul_f32_e32 v81, v53, v83
	v_fma_f32 v75, v53, v82, -v24
	v_fmac_f32_e32 v81, v54, v82
	v_sub_f32_e32 v24, v86, v34
	v_fma_f32 v26, v86, 2.0, -v24
	v_sub_f32_e32 v34, v88, v36
	v_sub_f32_e32 v50, v104, v59
	;; [unrolled: 1-line block ×14, first 2 shown]
	v_fma_f32 v36, v88, 2.0, -v34
	v_fma_f32 v48, v94, 2.0, -v46
	;; [unrolled: 1-line block ×16, first 2 shown]
	ds_write_b64 v97, v[26:27]
	ds_write_b64 v97, v[24:25] offset:4992
	ds_write_b64 v103, v[36:37]
	ds_write_b64 v103, v[34:35] offset:4992
	;; [unrolled: 2-line block ×12, first 2 shown]
	s_waitcnt lgkmcnt(0)
	; wave barrier
	s_waitcnt lgkmcnt(0)
	ds_read_b64 v[26:27], v97
	v_sub_u32_e32 v34, 0, v99
                                        ; implicit-def: $vgpr25
                                        ; implicit-def: $vgpr35
	s_and_saveexec_b64 s[4:5], vcc
	s_xor_b64 s[4:5], exec, s[4:5]
	s_cbranch_execz .LBB0_19
; %bb.18:
	v_mov_b32_e32 v24, s7
	v_add_co_u32_e32 v0, vcc, s6, v0
	v_addc_co_u32_e32 v1, vcc, v24, v1, vcc
	global_load_dwordx2 v[0:1], v[0:1], off
	ds_read_b64 v[24:25], v34 offset:9984
	s_waitcnt lgkmcnt(0)
	v_add_f32_e32 v36, v24, v26
	v_sub_f32_e32 v24, v26, v24
	v_add_f32_e32 v35, v25, v27
	v_sub_f32_e32 v25, v27, v25
	v_mul_f32_e32 v27, 0.5, v24
	v_mul_f32_e32 v24, 0.5, v25
	;; [unrolled: 1-line block ×3, first 2 shown]
	s_waitcnt vmcnt(0)
	v_mul_f32_e32 v25, v1, v27
	v_fma_f32 v37, 0.5, v36, v25
	v_fma_f32 v35, v26, v1, v24
	v_fma_f32 v1, v26, v1, -v24
	v_fma_f32 v24, v36, 0.5, -v25
	v_fmac_f32_e32 v37, v0, v26
	v_fma_f32 v35, -v0, v27, v35
	v_fma_f32 v24, -v0, v26, v24
	ds_write_b32 v97, v37
	v_fma_f32 v25, -v0, v27, v1
                                        ; implicit-def: $vgpr26_vgpr27
.LBB0_19:
	s_andn2_saveexec_b64 s[4:5], s[4:5]
	s_cbranch_execz .LBB0_21
; %bb.20:
	v_mov_b32_e32 v35, 0
	ds_read_b32 v0, v35 offset:4996
	s_waitcnt lgkmcnt(1)
	v_add_f32_e32 v1, v26, v27
	v_sub_f32_e32 v24, v26, v27
	v_mov_b32_e32 v25, v35
	ds_write_b32 v97, v1
	s_waitcnt lgkmcnt(1)
	v_xor_b32_e32 v0, 0x80000000, v0
	ds_write_b32 v35, v0 offset:4996
.LBB0_21:
	s_or_b64 exec, exec, s[4:5]
	v_mov_b32_e32 v1, s7
	v_add_co_u32_e32 v0, vcc, s6, v12
	v_addc_co_u32_e32 v1, vcc, v1, v13, vcc
	global_load_dwordx2 v[0:1], v[0:1], off
	v_mov_b32_e32 v12, s7
	v_add_co_u32_e32 v10, vcc, s6, v10
	v_addc_co_u32_e32 v11, vcc, v12, v11, vcc
	global_load_dwordx2 v[10:11], v[10:11], off
	v_add_co_u32_e32 v8, vcc, s6, v8
	v_addc_co_u32_e32 v9, vcc, v12, v9, vcc
	global_load_dwordx2 v[8:9], v[8:9], off
	s_waitcnt lgkmcnt(0)
	v_mov_b32_e32 v26, s7
	v_add_co_u32_e32 v6, vcc, s6, v6
	ds_write_b32 v97, v35 offset:4
	ds_write_b64 v34, v[24:25] offset:9984
	v_addc_co_u32_e32 v7, vcc, v26, v7, vcc
	ds_read_b64 v[12:13], v103
	ds_read_b64 v[24:25], v34 offset:9568
	global_load_dwordx2 v[6:7], v[6:7], off
	v_mov_b32_e32 v27, s7
	v_add_co_u32_e32 v4, vcc, s6, v4
	s_waitcnt lgkmcnt(0)
	v_add_f32_e32 v26, v12, v24
	v_sub_f32_e32 v12, v12, v24
	v_add_f32_e32 v36, v13, v25
	v_sub_f32_e32 v13, v13, v25
	v_mul_f32_e32 v25, 0.5, v12
	v_mul_f32_e32 v24, 0.5, v36
	;; [unrolled: 1-line block ×3, first 2 shown]
	v_addc_co_u32_e32 v5, vcc, v27, v5, vcc
	v_mov_b32_e32 v35, s7
	s_waitcnt vmcnt(3)
	v_mul_f32_e32 v36, v1, v25
	v_fma_f32 v13, v24, v1, v12
	v_fma_f32 v1, v24, v1, -v12
	v_fma_f32 v12, 0.5, v26, v36
	v_fma_f32 v13, -v0, v25, v13
	v_fma_f32 v26, v26, 0.5, -v36
	v_fmac_f32_e32 v12, v0, v24
	v_fma_f32 v1, -v0, v25, v1
	v_fma_f32 v0, -v0, v24, v26
	ds_write_b64 v103, v[12:13]
	ds_write_b64 v34, v[0:1] offset:9568
	ds_read_b64 v[0:1], v102
	ds_read_b64 v[12:13], v34 offset:9152
	global_load_dwordx2 v[4:5], v[4:5], off
	s_waitcnt lgkmcnt(0)
	v_add_f32_e32 v24, v0, v12
	v_sub_f32_e32 v0, v0, v12
	v_add_f32_e32 v25, v1, v13
	v_sub_f32_e32 v1, v1, v13
	v_mul_f32_e32 v13, 0.5, v0
	v_mul_f32_e32 v12, 0.5, v25
	;; [unrolled: 1-line block ×3, first 2 shown]
	s_waitcnt vmcnt(3)
	v_mul_f32_e32 v25, v11, v13
	v_fma_f32 v1, v12, v11, v0
	v_fma_f32 v11, v12, v11, -v0
	v_fma_f32 v0, 0.5, v24, v25
	v_fma_f32 v1, -v10, v13, v1
	v_fma_f32 v24, v24, 0.5, -v25
	v_fmac_f32_e32 v0, v10, v12
	v_fma_f32 v11, -v10, v13, v11
	v_fma_f32 v10, -v10, v12, v24
	ds_write_b64 v102, v[0:1]
	ds_write_b64 v34, v[10:11] offset:9152
	ds_read_b64 v[0:1], v101
	ds_read_b64 v[10:11], v34 offset:8736
	v_add_co_u32_e32 v12, vcc, s6, v22
	v_addc_co_u32_e32 v13, vcc, v35, v23, vcc
	s_waitcnt lgkmcnt(0)
	v_add_f32_e32 v22, v0, v10
	v_sub_f32_e32 v0, v0, v10
	v_add_f32_e32 v23, v1, v11
	v_sub_f32_e32 v1, v1, v11
	v_mul_f32_e32 v11, 0.5, v0
	v_mul_f32_e32 v10, 0.5, v23
	;; [unrolled: 1-line block ×3, first 2 shown]
	s_waitcnt vmcnt(2)
	v_mul_f32_e32 v23, v9, v11
	v_fma_f32 v1, v10, v9, v0
	v_fma_f32 v9, v10, v9, -v0
	v_fma_f32 v0, 0.5, v22, v23
	v_fma_f32 v1, -v8, v11, v1
	v_fma_f32 v22, v22, 0.5, -v23
	v_fmac_f32_e32 v0, v8, v10
	global_load_dwordx2 v[12:13], v[12:13], off
	v_fma_f32 v9, -v8, v11, v9
	v_fma_f32 v8, -v8, v10, v22
	ds_write_b64 v101, v[0:1]
	ds_write_b64 v34, v[8:9] offset:8736
	ds_read_b64 v[0:1], v100
	ds_read_b64 v[8:9], v34 offset:8320
	v_mov_b32_e32 v10, s7
	s_waitcnt lgkmcnt(0)
	v_add_f32_e32 v11, v0, v8
	v_sub_f32_e32 v0, v0, v8
	v_add_f32_e32 v22, v1, v9
	v_sub_f32_e32 v1, v1, v9
	v_mul_f32_e32 v9, 0.5, v0
	v_mul_f32_e32 v8, 0.5, v22
	v_mul_f32_e32 v0, 0.5, v1
	s_waitcnt vmcnt(2)
	v_mul_f32_e32 v22, v7, v9
	v_fma_f32 v1, v8, v7, v0
	v_fma_f32 v7, v8, v7, -v0
	v_fma_f32 v0, 0.5, v11, v22
	v_fma_f32 v1, -v6, v9, v1
	v_fma_f32 v11, v11, 0.5, -v22
	v_fmac_f32_e32 v0, v6, v8
	v_fma_f32 v7, -v6, v9, v7
	v_fma_f32 v6, -v6, v8, v11
	ds_write_b64 v100, v[0:1]
	ds_write_b64 v34, v[6:7] offset:8320
	v_add_co_u32_e32 v0, vcc, s6, v20
	v_addc_co_u32_e32 v1, vcc, v10, v21, vcc
	global_load_dwordx2 v[0:1], v[0:1], off
	ds_read_b64 v[6:7], v98
	ds_read_b64 v[8:9], v34 offset:7904
	s_waitcnt lgkmcnt(0)
	v_add_f32_e32 v10, v6, v8
	v_add_f32_e32 v11, v7, v9
	v_sub_f32_e32 v6, v6, v8
	v_sub_f32_e32 v7, v7, v9
	v_mul_f32_e32 v20, 0.5, v6
	v_mul_f32_e32 v21, 0.5, v7
	v_mov_b32_e32 v7, s7
	v_add_co_u32_e32 v6, vcc, s6, v18
	v_mul_f32_e32 v11, 0.5, v11
	v_addc_co_u32_e32 v7, vcc, v7, v19, vcc
	s_waitcnt vmcnt(2)
	v_mul_f32_e32 v18, v5, v20
	global_load_dwordx2 v[6:7], v[6:7], off
	v_fma_f32 v8, 0.5, v10, v18
	v_fma_f32 v9, v11, v5, v21
	v_fmac_f32_e32 v8, v4, v11
	v_fma_f32 v9, -v4, v20, v9
	ds_write_b64 v98, v[8:9]
	v_fma_f32 v8, v10, 0.5, -v18
	v_fma_f32 v5, v11, v5, -v21
	v_fma_f32 v8, -v4, v11, v8
	v_fma_f32 v9, -v4, v20, v5
	ds_write_b64 v34, v[8:9] offset:7904
	ds_read_b64 v[4:5], v33
	ds_read_b64 v[8:9], v34 offset:7488
	s_waitcnt lgkmcnt(0)
	v_add_f32_e32 v10, v4, v8
	v_add_f32_e32 v11, v5, v9
	v_sub_f32_e32 v4, v4, v8
	v_sub_f32_e32 v5, v5, v9
	v_mul_f32_e32 v18, 0.5, v4
	v_mul_f32_e32 v19, 0.5, v5
	v_mov_b32_e32 v5, s7
	v_add_co_u32_e32 v4, vcc, s6, v16
	v_addc_co_u32_e32 v5, vcc, v5, v17, vcc
	global_load_dwordx2 v[4:5], v[4:5], off
	v_mul_f32_e32 v11, 0.5, v11
	s_waitcnt vmcnt(3)
	v_mul_f32_e32 v20, v13, v18
	v_fma_f32 v8, 0.5, v10, v20
	v_fma_f32 v9, v11, v13, v19
	v_fmac_f32_e32 v8, v12, v11
	v_fma_f32 v9, -v12, v18, v9
	ds_write_b64 v33, v[8:9]
	v_fma_f32 v8, v10, 0.5, -v20
	v_fma_f32 v9, v11, v13, -v19
	v_fma_f32 v8, -v12, v11, v8
	v_fma_f32 v9, -v12, v18, v9
	v_mov_b32_e32 v13, s7
	v_add_co_u32_e32 v12, vcc, s6, v14
	ds_write_b64 v34, v[8:9] offset:7488
	v_addc_co_u32_e32 v13, vcc, v13, v15, vcc
	ds_read_b64 v[8:9], v32
	ds_read_b64 v[10:11], v34 offset:7072
	global_load_dwordx2 v[12:13], v[12:13], off
	v_add_co_u32_e32 v2, vcc, s6, v2
	s_waitcnt lgkmcnt(0)
	v_add_f32_e32 v16, v8, v10
	v_sub_f32_e32 v8, v8, v10
	v_add_f32_e32 v17, v9, v11
	v_sub_f32_e32 v9, v9, v11
	v_mul_f32_e32 v10, 0.5, v8
	v_mul_f32_e32 v14, 0.5, v17
	v_mul_f32_e32 v11, 0.5, v9
	s_waitcnt vmcnt(3)
	v_mul_f32_e32 v15, v1, v10
	v_fma_f32 v8, 0.5, v16, v15
	v_fma_f32 v9, v14, v1, v11
	v_fmac_f32_e32 v8, v0, v14
	v_fma_f32 v9, -v0, v10, v9
	ds_write_b64 v32, v[8:9]
	v_fma_f32 v8, v16, 0.5, -v15
	v_fma_f32 v1, v14, v1, -v11
	v_fma_f32 v8, -v0, v14, v8
	v_fma_f32 v9, -v0, v10, v1
	v_mov_b32_e32 v10, s7
	ds_write_b64 v34, v[8:9] offset:7072
	v_addc_co_u32_e32 v3, vcc, v10, v3, vcc
	ds_read_b64 v[0:1], v31
	ds_read_b64 v[8:9], v34 offset:6656
	global_load_dwordx2 v[2:3], v[2:3], off
	s_waitcnt lgkmcnt(0)
	v_add_f32_e32 v10, v0, v8
	v_sub_f32_e32 v0, v0, v8
	v_add_f32_e32 v11, v1, v9
	v_sub_f32_e32 v1, v1, v9
	v_mul_f32_e32 v8, 0.5, v0
	v_mul_f32_e32 v11, 0.5, v11
	v_mul_f32_e32 v9, 0.5, v1
	s_waitcnt vmcnt(3)
	v_mul_f32_e32 v14, v7, v8
	v_fma_f32 v0, 0.5, v10, v14
	v_fma_f32 v1, v11, v7, v9
	v_fmac_f32_e32 v0, v6, v11
	v_fma_f32 v1, -v6, v8, v1
	ds_write_b64 v31, v[0:1]
	v_fma_f32 v0, v10, 0.5, -v14
	v_fma_f32 v1, v11, v7, -v9
	v_fma_f32 v0, -v6, v11, v0
	v_fma_f32 v1, -v6, v8, v1
	ds_write_b64 v34, v[0:1] offset:6656
	ds_read_b64 v[0:1], v30
	ds_read_b64 v[6:7], v34 offset:6240
	s_waitcnt lgkmcnt(0)
	v_add_f32_e32 v8, v0, v6
	v_sub_f32_e32 v0, v0, v6
	v_add_f32_e32 v9, v1, v7
	v_sub_f32_e32 v1, v1, v7
	v_mul_f32_e32 v6, 0.5, v0
	v_mul_f32_e32 v9, 0.5, v9
	v_mul_f32_e32 v7, 0.5, v1
	s_waitcnt vmcnt(2)
	v_mul_f32_e32 v10, v5, v6
	v_fma_f32 v0, 0.5, v8, v10
	v_fma_f32 v1, v9, v5, v7
	v_fmac_f32_e32 v0, v4, v9
	v_fma_f32 v1, -v4, v6, v1
	ds_write_b64 v30, v[0:1]
	v_fma_f32 v0, v8, 0.5, -v10
	v_fma_f32 v1, v9, v5, -v7
	v_fma_f32 v0, -v4, v9, v0
	v_fma_f32 v1, -v4, v6, v1
	ds_write_b64 v34, v[0:1] offset:6240
	ds_read_b64 v[0:1], v29
	ds_read_b64 v[4:5], v34 offset:5824
	;; [unrolled: 22-line block ×3, first 2 shown]
	s_waitcnt lgkmcnt(0)
	v_add_f32_e32 v6, v0, v4
	v_sub_f32_e32 v0, v0, v4
	v_add_f32_e32 v7, v1, v5
	v_sub_f32_e32 v1, v1, v5
	v_mul_f32_e32 v4, 0.5, v0
	v_mul_f32_e32 v7, 0.5, v7
	;; [unrolled: 1-line block ×3, first 2 shown]
	s_waitcnt vmcnt(0)
	v_mul_f32_e32 v8, v3, v4
	v_fma_f32 v0, 0.5, v6, v8
	v_fma_f32 v1, v7, v3, v5
	v_fmac_f32_e32 v0, v2, v7
	v_fma_f32 v1, -v2, v4, v1
	ds_write_b64 v28, v[0:1]
	v_fma_f32 v0, v6, 0.5, -v8
	v_fma_f32 v1, v7, v3, -v5
	v_fma_f32 v0, -v2, v7, v0
	v_fma_f32 v1, -v2, v4, v1
	ds_write_b64 v34, v[0:1] offset:5408
	s_waitcnt lgkmcnt(0)
	; wave barrier
	s_waitcnt lgkmcnt(0)
	s_and_saveexec_b64 s[4:5], s[0:1]
	s_cbranch_execz .LBB0_24
; %bb.22:
	v_mul_lo_u32 v2, s3, v76
	v_mul_lo_u32 v3, s2, v77
	v_mad_u64_u32 v[0:1], s[0:1], s2, v76, 0
	v_mov_b32_e32 v6, s11
	v_lshl_add_u32 v8, v74, 3, 0
	v_add3_u32 v1, v1, v3, v2
	v_lshlrev_b64 v[0:1], 3, v[0:1]
	v_mov_b32_e32 v75, 0
	v_add_co_u32_e32 v0, vcc, s10, v0
	v_addc_co_u32_e32 v9, vcc, v6, v1, vcc
	v_lshlrev_b64 v[6:7], 3, v[72:73]
	ds_read2_b64 v[2:5], v8 offset1:52
	v_add_co_u32_e32 v1, vcc, v0, v6
	v_addc_co_u32_e32 v0, vcc, v9, v7, vcc
	v_lshlrev_b64 v[6:7], 3, v[74:75]
	v_add_u32_e32 v9, 0x800, v8
	v_add_co_u32_e32 v6, vcc, v1, v6
	v_addc_co_u32_e32 v7, vcc, v0, v7, vcc
	s_waitcnt lgkmcnt(0)
	global_store_dwordx2 v[6:7], v[2:3], off
	v_add_u32_e32 v2, 52, v74
	v_mov_b32_e32 v3, v75
	v_lshlrev_b64 v[2:3], 3, v[2:3]
	v_add_u32_e32 v6, 0x68, v74
	v_add_co_u32_e32 v2, vcc, v1, v2
	v_addc_co_u32_e32 v3, vcc, v0, v3, vcc
	global_store_dwordx2 v[2:3], v[4:5], off
	v_mov_b32_e32 v7, v75
	ds_read2_b64 v[2:5], v8 offset0:104 offset1:156
	v_lshlrev_b64 v[6:7], 3, v[6:7]
	v_add_co_u32_e32 v6, vcc, v1, v6
	v_addc_co_u32_e32 v7, vcc, v0, v7, vcc
	s_waitcnt lgkmcnt(0)
	global_store_dwordx2 v[6:7], v[2:3], off
	v_add_u32_e32 v2, 0x9c, v74
	v_mov_b32_e32 v3, v75
	v_lshlrev_b64 v[2:3], 3, v[2:3]
	v_add_u32_e32 v6, 0xd0, v74
	v_add_co_u32_e32 v2, vcc, v1, v2
	v_addc_co_u32_e32 v3, vcc, v0, v3, vcc
	global_store_dwordx2 v[2:3], v[4:5], off
	v_add_u32_e32 v2, 0x400, v8
	v_mov_b32_e32 v7, v75
	ds_read2_b64 v[2:5], v2 offset0:80 offset1:132
	v_lshlrev_b64 v[6:7], 3, v[6:7]
	v_add_co_u32_e32 v6, vcc, v1, v6
	v_addc_co_u32_e32 v7, vcc, v0, v7, vcc
	s_waitcnt lgkmcnt(0)
	global_store_dwordx2 v[6:7], v[2:3], off
	v_add_u32_e32 v2, 0x104, v74
	v_mov_b32_e32 v3, v75
	v_lshlrev_b64 v[2:3], 3, v[2:3]
	v_add_u32_e32 v6, 0x138, v74
	v_add_co_u32_e32 v2, vcc, v1, v2
	v_addc_co_u32_e32 v3, vcc, v0, v3, vcc
	global_store_dwordx2 v[2:3], v[4:5], off
	v_mov_b32_e32 v7, v75
	ds_read2_b64 v[2:5], v9 offset0:56 offset1:108
	v_lshlrev_b64 v[6:7], 3, v[6:7]
	v_add_co_u32_e32 v6, vcc, v1, v6
	v_addc_co_u32_e32 v7, vcc, v0, v7, vcc
	s_waitcnt lgkmcnt(0)
	global_store_dwordx2 v[6:7], v[2:3], off
	v_add_u32_e32 v2, 0x16c, v74
	v_mov_b32_e32 v3, v75
	v_lshlrev_b64 v[2:3], 3, v[2:3]
	v_add_u32_e32 v6, 0x1a0, v74
	v_add_co_u32_e32 v2, vcc, v1, v2
	v_addc_co_u32_e32 v3, vcc, v0, v3, vcc
	global_store_dwordx2 v[2:3], v[4:5], off
	v_mov_b32_e32 v7, v75
	ds_read2_b64 v[2:5], v9 offset0:160 offset1:212
	v_lshlrev_b64 v[6:7], 3, v[6:7]
	v_add_u32_e32 v9, 0x1000, v8
	v_add_co_u32_e32 v6, vcc, v1, v6
	v_addc_co_u32_e32 v7, vcc, v0, v7, vcc
	s_waitcnt lgkmcnt(0)
	global_store_dwordx2 v[6:7], v[2:3], off
	v_add_u32_e32 v2, 0x1d4, v74
	v_mov_b32_e32 v3, v75
	v_lshlrev_b64 v[2:3], 3, v[2:3]
	v_add_u32_e32 v6, 0x208, v74
	v_add_co_u32_e32 v2, vcc, v1, v2
	v_addc_co_u32_e32 v3, vcc, v0, v3, vcc
	global_store_dwordx2 v[2:3], v[4:5], off
	v_mov_b32_e32 v7, v75
	ds_read2_b64 v[2:5], v9 offset0:8 offset1:60
	v_lshlrev_b64 v[6:7], 3, v[6:7]
	v_add_co_u32_e32 v6, vcc, v1, v6
	v_addc_co_u32_e32 v7, vcc, v0, v7, vcc
	s_waitcnt lgkmcnt(0)
	global_store_dwordx2 v[6:7], v[2:3], off
	v_add_u32_e32 v2, 0x23c, v74
	v_mov_b32_e32 v3, v75
	v_lshlrev_b64 v[2:3], 3, v[2:3]
	v_add_u32_e32 v6, 0x270, v74
	v_add_co_u32_e32 v2, vcc, v1, v2
	v_addc_co_u32_e32 v3, vcc, v0, v3, vcc
	global_store_dwordx2 v[2:3], v[4:5], off
	v_mov_b32_e32 v7, v75
	ds_read2_b64 v[2:5], v9 offset0:112 offset1:164
	v_lshlrev_b64 v[6:7], 3, v[6:7]
	v_add_u32_e32 v9, 0x1800, v8
	v_add_co_u32_e32 v6, vcc, v1, v6
	v_addc_co_u32_e32 v7, vcc, v0, v7, vcc
	s_waitcnt lgkmcnt(0)
	global_store_dwordx2 v[6:7], v[2:3], off
	v_add_u32_e32 v2, 0x2a4, v74
	v_mov_b32_e32 v3, v75
	v_lshlrev_b64 v[2:3], 3, v[2:3]
	v_add_u32_e32 v6, 0x2d8, v74
	v_add_co_u32_e32 v2, vcc, v1, v2
	v_addc_co_u32_e32 v3, vcc, v0, v3, vcc
	global_store_dwordx2 v[2:3], v[4:5], off
	v_add_u32_e32 v2, 0x1400, v8
	v_mov_b32_e32 v7, v75
	ds_read2_b64 v[2:5], v2 offset0:88 offset1:140
	v_lshlrev_b64 v[6:7], 3, v[6:7]
	v_add_u32_e32 v8, 0x2000, v8
	v_add_co_u32_e32 v6, vcc, v1, v6
	v_addc_co_u32_e32 v7, vcc, v0, v7, vcc
	s_waitcnt lgkmcnt(0)
	global_store_dwordx2 v[6:7], v[2:3], off
	v_add_u32_e32 v2, 0x30c, v74
	v_mov_b32_e32 v3, v75
	v_lshlrev_b64 v[2:3], 3, v[2:3]
	v_add_u32_e32 v6, 0x340, v74
	v_add_co_u32_e32 v2, vcc, v1, v2
	v_addc_co_u32_e32 v3, vcc, v0, v3, vcc
	global_store_dwordx2 v[2:3], v[4:5], off
	v_mov_b32_e32 v7, v75
	ds_read2_b64 v[2:5], v9 offset0:64 offset1:116
	v_lshlrev_b64 v[6:7], 3, v[6:7]
	v_add_co_u32_e32 v6, vcc, v1, v6
	v_addc_co_u32_e32 v7, vcc, v0, v7, vcc
	s_waitcnt lgkmcnt(0)
	global_store_dwordx2 v[6:7], v[2:3], off
	v_add_u32_e32 v2, 0x374, v74
	v_mov_b32_e32 v3, v75
	v_lshlrev_b64 v[2:3], 3, v[2:3]
	v_add_u32_e32 v6, 0x3a8, v74
	v_add_co_u32_e32 v2, vcc, v1, v2
	v_addc_co_u32_e32 v3, vcc, v0, v3, vcc
	global_store_dwordx2 v[2:3], v[4:5], off
	v_mov_b32_e32 v7, v75
	ds_read2_b64 v[2:5], v9 offset0:168 offset1:220
	v_lshlrev_b64 v[6:7], 3, v[6:7]
	;; [unrolled: 14-line block ×4, first 2 shown]
	v_add_co_u32_e32 v6, vcc, v1, v6
	v_addc_co_u32_e32 v7, vcc, v0, v7, vcc
	s_waitcnt lgkmcnt(0)
	global_store_dwordx2 v[6:7], v[2:3], off
	v_add_u32_e32 v2, 0x4ac, v74
	v_mov_b32_e32 v3, v75
	v_lshlrev_b64 v[2:3], 3, v[2:3]
	v_add_co_u32_e32 v2, vcc, v1, v2
	v_addc_co_u32_e32 v3, vcc, v0, v3, vcc
	v_cmp_eq_u32_e32 vcc, 51, v74
	global_store_dwordx2 v[2:3], v[4:5], off
	s_and_b64 exec, exec, vcc
	s_cbranch_execz .LBB0_24
; %bb.23:
	ds_read_b64 v[2:3], v75 offset:9984
	v_add_co_u32_e32 v4, vcc, 0x2000, v1
	v_addc_co_u32_e32 v5, vcc, 0, v0, vcc
	s_waitcnt lgkmcnt(0)
	global_store_dwordx2 v[4:5], v[2:3], off offset:1792
.LBB0_24:
	s_endpgm
	.section	.rodata,"a",@progbits
	.p2align	6, 0x0
	.amdhsa_kernel fft_rtc_fwd_len1248_factors_2_2_13_2_3_2_2_wgs_52_tpt_52_halfLds_sp_op_CI_CI_unitstride_sbrr_R2C_dirReg
		.amdhsa_group_segment_fixed_size 0
		.amdhsa_private_segment_fixed_size 0
		.amdhsa_kernarg_size 104
		.amdhsa_user_sgpr_count 6
		.amdhsa_user_sgpr_private_segment_buffer 1
		.amdhsa_user_sgpr_dispatch_ptr 0
		.amdhsa_user_sgpr_queue_ptr 0
		.amdhsa_user_sgpr_kernarg_segment_ptr 1
		.amdhsa_user_sgpr_dispatch_id 0
		.amdhsa_user_sgpr_flat_scratch_init 0
		.amdhsa_user_sgpr_private_segment_size 0
		.amdhsa_uses_dynamic_stack 0
		.amdhsa_system_sgpr_private_segment_wavefront_offset 0
		.amdhsa_system_sgpr_workgroup_id_x 1
		.amdhsa_system_sgpr_workgroup_id_y 0
		.amdhsa_system_sgpr_workgroup_id_z 0
		.amdhsa_system_sgpr_workgroup_info 0
		.amdhsa_system_vgpr_workitem_id 0
		.amdhsa_next_free_vgpr 143
		.amdhsa_next_free_sgpr 28
		.amdhsa_reserve_vcc 1
		.amdhsa_reserve_flat_scratch 0
		.amdhsa_float_round_mode_32 0
		.amdhsa_float_round_mode_16_64 0
		.amdhsa_float_denorm_mode_32 3
		.amdhsa_float_denorm_mode_16_64 3
		.amdhsa_dx10_clamp 1
		.amdhsa_ieee_mode 1
		.amdhsa_fp16_overflow 0
		.amdhsa_exception_fp_ieee_invalid_op 0
		.amdhsa_exception_fp_denorm_src 0
		.amdhsa_exception_fp_ieee_div_zero 0
		.amdhsa_exception_fp_ieee_overflow 0
		.amdhsa_exception_fp_ieee_underflow 0
		.amdhsa_exception_fp_ieee_inexact 0
		.amdhsa_exception_int_div_zero 0
	.end_amdhsa_kernel
	.text
.Lfunc_end0:
	.size	fft_rtc_fwd_len1248_factors_2_2_13_2_3_2_2_wgs_52_tpt_52_halfLds_sp_op_CI_CI_unitstride_sbrr_R2C_dirReg, .Lfunc_end0-fft_rtc_fwd_len1248_factors_2_2_13_2_3_2_2_wgs_52_tpt_52_halfLds_sp_op_CI_CI_unitstride_sbrr_R2C_dirReg
                                        ; -- End function
	.section	.AMDGPU.csdata,"",@progbits
; Kernel info:
; codeLenInByte = 18332
; NumSgprs: 32
; NumVgprs: 143
; ScratchSize: 0
; MemoryBound: 0
; FloatMode: 240
; IeeeMode: 1
; LDSByteSize: 0 bytes/workgroup (compile time only)
; SGPRBlocks: 3
; VGPRBlocks: 35
; NumSGPRsForWavesPerEU: 32
; NumVGPRsForWavesPerEU: 143
; Occupancy: 1
; WaveLimiterHint : 1
; COMPUTE_PGM_RSRC2:SCRATCH_EN: 0
; COMPUTE_PGM_RSRC2:USER_SGPR: 6
; COMPUTE_PGM_RSRC2:TRAP_HANDLER: 0
; COMPUTE_PGM_RSRC2:TGID_X_EN: 1
; COMPUTE_PGM_RSRC2:TGID_Y_EN: 0
; COMPUTE_PGM_RSRC2:TGID_Z_EN: 0
; COMPUTE_PGM_RSRC2:TIDIG_COMP_CNT: 0
	.type	__hip_cuid_fda6d5023eb82630,@object ; @__hip_cuid_fda6d5023eb82630
	.section	.bss,"aw",@nobits
	.globl	__hip_cuid_fda6d5023eb82630
__hip_cuid_fda6d5023eb82630:
	.byte	0                               ; 0x0
	.size	__hip_cuid_fda6d5023eb82630, 1

	.ident	"AMD clang version 19.0.0git (https://github.com/RadeonOpenCompute/llvm-project roc-6.4.0 25133 c7fe45cf4b819c5991fe208aaa96edf142730f1d)"
	.section	".note.GNU-stack","",@progbits
	.addrsig
	.addrsig_sym __hip_cuid_fda6d5023eb82630
	.amdgpu_metadata
---
amdhsa.kernels:
  - .args:
      - .actual_access:  read_only
        .address_space:  global
        .offset:         0
        .size:           8
        .value_kind:     global_buffer
      - .offset:         8
        .size:           8
        .value_kind:     by_value
      - .actual_access:  read_only
        .address_space:  global
        .offset:         16
        .size:           8
        .value_kind:     global_buffer
      - .actual_access:  read_only
        .address_space:  global
        .offset:         24
        .size:           8
        .value_kind:     global_buffer
      - .actual_access:  read_only
        .address_space:  global
        .offset:         32
        .size:           8
        .value_kind:     global_buffer
      - .offset:         40
        .size:           8
        .value_kind:     by_value
      - .actual_access:  read_only
        .address_space:  global
        .offset:         48
        .size:           8
        .value_kind:     global_buffer
      - .actual_access:  read_only
        .address_space:  global
        .offset:         56
        .size:           8
        .value_kind:     global_buffer
      - .offset:         64
        .size:           4
        .value_kind:     by_value
      - .actual_access:  read_only
        .address_space:  global
        .offset:         72
        .size:           8
        .value_kind:     global_buffer
      - .actual_access:  read_only
        .address_space:  global
        .offset:         80
        .size:           8
        .value_kind:     global_buffer
      - .actual_access:  read_only
        .address_space:  global
        .offset:         88
        .size:           8
        .value_kind:     global_buffer
      - .actual_access:  write_only
        .address_space:  global
        .offset:         96
        .size:           8
        .value_kind:     global_buffer
    .group_segment_fixed_size: 0
    .kernarg_segment_align: 8
    .kernarg_segment_size: 104
    .language:       OpenCL C
    .language_version:
      - 2
      - 0
    .max_flat_workgroup_size: 52
    .name:           fft_rtc_fwd_len1248_factors_2_2_13_2_3_2_2_wgs_52_tpt_52_halfLds_sp_op_CI_CI_unitstride_sbrr_R2C_dirReg
    .private_segment_fixed_size: 0
    .sgpr_count:     32
    .sgpr_spill_count: 0
    .symbol:         fft_rtc_fwd_len1248_factors_2_2_13_2_3_2_2_wgs_52_tpt_52_halfLds_sp_op_CI_CI_unitstride_sbrr_R2C_dirReg.kd
    .uniform_work_group_size: 1
    .uses_dynamic_stack: false
    .vgpr_count:     143
    .vgpr_spill_count: 0
    .wavefront_size: 64
amdhsa.target:   amdgcn-amd-amdhsa--gfx906
amdhsa.version:
  - 1
  - 2
...

	.end_amdgpu_metadata
